;; amdgpu-corpus repo=ROCm/rocFFT kind=compiled arch=gfx1030 opt=O3
	.text
	.amdgcn_target "amdgcn-amd-amdhsa--gfx1030"
	.amdhsa_code_object_version 6
	.protected	fft_rtc_fwd_len3456_factors_6_6_6_4_4_wgs_144_tpt_144_halfLds_dp_ip_CI_unitstride_sbrr_dirReg ; -- Begin function fft_rtc_fwd_len3456_factors_6_6_6_4_4_wgs_144_tpt_144_halfLds_dp_ip_CI_unitstride_sbrr_dirReg
	.globl	fft_rtc_fwd_len3456_factors_6_6_6_4_4_wgs_144_tpt_144_halfLds_dp_ip_CI_unitstride_sbrr_dirReg
	.p2align	8
	.type	fft_rtc_fwd_len3456_factors_6_6_6_4_4_wgs_144_tpt_144_halfLds_dp_ip_CI_unitstride_sbrr_dirReg,@function
fft_rtc_fwd_len3456_factors_6_6_6_4_4_wgs_144_tpt_144_halfLds_dp_ip_CI_unitstride_sbrr_dirReg: ; @fft_rtc_fwd_len3456_factors_6_6_6_4_4_wgs_144_tpt_144_halfLds_dp_ip_CI_unitstride_sbrr_dirReg
; %bb.0:
	s_clause 0x2
	s_load_dwordx4 s[8:11], s[4:5], 0x0
	s_load_dwordx2 s[2:3], s[4:5], 0x50
	s_load_dwordx2 s[12:13], s[4:5], 0x18
	v_mul_u32_u24_e32 v1, 0x1c8, v0
	v_mov_b32_e32 v3, 0
	v_add_nc_u32_sdwa v5, s6, v1 dst_sel:DWORD dst_unused:UNUSED_PAD src0_sel:DWORD src1_sel:WORD_1
	v_mov_b32_e32 v1, 0
	v_mov_b32_e32 v6, v3
	v_mov_b32_e32 v2, 0
	s_waitcnt lgkmcnt(0)
	v_cmp_lt_u64_e64 s0, s[10:11], 2
	s_and_b32 vcc_lo, exec_lo, s0
	s_cbranch_vccnz .LBB0_8
; %bb.1:
	s_load_dwordx2 s[0:1], s[4:5], 0x10
	v_mov_b32_e32 v1, 0
	s_add_u32 s6, s12, 8
	v_mov_b32_e32 v2, 0
	s_addc_u32 s7, s13, 0
	s_mov_b64 s[16:17], 1
	s_waitcnt lgkmcnt(0)
	s_add_u32 s14, s0, 8
	s_addc_u32 s15, s1, 0
.LBB0_2:                                ; =>This Inner Loop Header: Depth=1
	s_load_dwordx2 s[18:19], s[14:15], 0x0
                                        ; implicit-def: $vgpr7_vgpr8
	s_mov_b32 s0, exec_lo
	s_waitcnt lgkmcnt(0)
	v_or_b32_e32 v4, s19, v6
	v_cmpx_ne_u64_e32 0, v[3:4]
	s_xor_b32 s1, exec_lo, s0
	s_cbranch_execz .LBB0_4
; %bb.3:                                ;   in Loop: Header=BB0_2 Depth=1
	v_cvt_f32_u32_e32 v4, s18
	v_cvt_f32_u32_e32 v7, s19
	s_sub_u32 s0, 0, s18
	s_subb_u32 s20, 0, s19
	v_fmac_f32_e32 v4, 0x4f800000, v7
	v_rcp_f32_e32 v4, v4
	v_mul_f32_e32 v4, 0x5f7ffffc, v4
	v_mul_f32_e32 v7, 0x2f800000, v4
	v_trunc_f32_e32 v7, v7
	v_fmac_f32_e32 v4, 0xcf800000, v7
	v_cvt_u32_f32_e32 v7, v7
	v_cvt_u32_f32_e32 v4, v4
	v_mul_lo_u32 v8, s0, v7
	v_mul_hi_u32 v9, s0, v4
	v_mul_lo_u32 v10, s20, v4
	v_add_nc_u32_e32 v8, v9, v8
	v_mul_lo_u32 v9, s0, v4
	v_add_nc_u32_e32 v8, v8, v10
	v_mul_hi_u32 v10, v4, v9
	v_mul_lo_u32 v11, v4, v8
	v_mul_hi_u32 v12, v4, v8
	v_mul_hi_u32 v13, v7, v9
	v_mul_lo_u32 v9, v7, v9
	v_mul_hi_u32 v14, v7, v8
	v_mul_lo_u32 v8, v7, v8
	v_add_co_u32 v10, vcc_lo, v10, v11
	v_add_co_ci_u32_e32 v11, vcc_lo, 0, v12, vcc_lo
	v_add_co_u32 v9, vcc_lo, v10, v9
	v_add_co_ci_u32_e32 v9, vcc_lo, v11, v13, vcc_lo
	v_add_co_ci_u32_e32 v10, vcc_lo, 0, v14, vcc_lo
	v_add_co_u32 v8, vcc_lo, v9, v8
	v_add_co_ci_u32_e32 v9, vcc_lo, 0, v10, vcc_lo
	v_add_co_u32 v4, vcc_lo, v4, v8
	v_add_co_ci_u32_e32 v7, vcc_lo, v7, v9, vcc_lo
	v_mul_hi_u32 v8, s0, v4
	v_mul_lo_u32 v10, s20, v4
	v_mul_lo_u32 v9, s0, v7
	v_add_nc_u32_e32 v8, v8, v9
	v_mul_lo_u32 v9, s0, v4
	v_add_nc_u32_e32 v8, v8, v10
	v_mul_hi_u32 v10, v4, v9
	v_mul_lo_u32 v11, v4, v8
	v_mul_hi_u32 v12, v4, v8
	v_mul_hi_u32 v13, v7, v9
	v_mul_lo_u32 v9, v7, v9
	v_mul_hi_u32 v14, v7, v8
	v_mul_lo_u32 v8, v7, v8
	v_add_co_u32 v10, vcc_lo, v10, v11
	v_add_co_ci_u32_e32 v11, vcc_lo, 0, v12, vcc_lo
	v_add_co_u32 v9, vcc_lo, v10, v9
	v_add_co_ci_u32_e32 v9, vcc_lo, v11, v13, vcc_lo
	v_add_co_ci_u32_e32 v10, vcc_lo, 0, v14, vcc_lo
	v_add_co_u32 v8, vcc_lo, v9, v8
	v_add_co_ci_u32_e32 v9, vcc_lo, 0, v10, vcc_lo
	v_add_co_u32 v4, vcc_lo, v4, v8
	v_add_co_ci_u32_e32 v11, vcc_lo, v7, v9, vcc_lo
	v_mul_hi_u32 v13, v5, v4
	v_mad_u64_u32 v[9:10], null, v6, v4, 0
	v_mad_u64_u32 v[7:8], null, v5, v11, 0
	;; [unrolled: 1-line block ×3, first 2 shown]
	v_add_co_u32 v4, vcc_lo, v13, v7
	v_add_co_ci_u32_e32 v7, vcc_lo, 0, v8, vcc_lo
	v_add_co_u32 v4, vcc_lo, v4, v9
	v_add_co_ci_u32_e32 v4, vcc_lo, v7, v10, vcc_lo
	v_add_co_ci_u32_e32 v7, vcc_lo, 0, v12, vcc_lo
	v_add_co_u32 v4, vcc_lo, v4, v11
	v_add_co_ci_u32_e32 v9, vcc_lo, 0, v7, vcc_lo
	v_mul_lo_u32 v10, s19, v4
	v_mad_u64_u32 v[7:8], null, s18, v4, 0
	v_mul_lo_u32 v11, s18, v9
	v_sub_co_u32 v7, vcc_lo, v5, v7
	v_add3_u32 v8, v8, v11, v10
	v_sub_nc_u32_e32 v10, v6, v8
	v_subrev_co_ci_u32_e64 v10, s0, s19, v10, vcc_lo
	v_add_co_u32 v11, s0, v4, 2
	v_add_co_ci_u32_e64 v12, s0, 0, v9, s0
	v_sub_co_u32 v13, s0, v7, s18
	v_sub_co_ci_u32_e32 v8, vcc_lo, v6, v8, vcc_lo
	v_subrev_co_ci_u32_e64 v10, s0, 0, v10, s0
	v_cmp_le_u32_e32 vcc_lo, s18, v13
	v_cmp_eq_u32_e64 s0, s19, v8
	v_cndmask_b32_e64 v13, 0, -1, vcc_lo
	v_cmp_le_u32_e32 vcc_lo, s19, v10
	v_cndmask_b32_e64 v14, 0, -1, vcc_lo
	v_cmp_le_u32_e32 vcc_lo, s18, v7
	;; [unrolled: 2-line block ×3, first 2 shown]
	v_cndmask_b32_e64 v15, 0, -1, vcc_lo
	v_cmp_eq_u32_e32 vcc_lo, s19, v10
	v_cndmask_b32_e64 v7, v15, v7, s0
	v_cndmask_b32_e32 v10, v14, v13, vcc_lo
	v_add_co_u32 v13, vcc_lo, v4, 1
	v_add_co_ci_u32_e32 v14, vcc_lo, 0, v9, vcc_lo
	v_cmp_ne_u32_e32 vcc_lo, 0, v10
	v_cndmask_b32_e32 v8, v14, v12, vcc_lo
	v_cndmask_b32_e32 v10, v13, v11, vcc_lo
	v_cmp_ne_u32_e32 vcc_lo, 0, v7
	v_cndmask_b32_e32 v8, v9, v8, vcc_lo
	v_cndmask_b32_e32 v7, v4, v10, vcc_lo
.LBB0_4:                                ;   in Loop: Header=BB0_2 Depth=1
	s_andn2_saveexec_b32 s0, s1
	s_cbranch_execz .LBB0_6
; %bb.5:                                ;   in Loop: Header=BB0_2 Depth=1
	v_cvt_f32_u32_e32 v4, s18
	s_sub_i32 s1, 0, s18
	v_rcp_iflag_f32_e32 v4, v4
	v_mul_f32_e32 v4, 0x4f7ffffe, v4
	v_cvt_u32_f32_e32 v4, v4
	v_mul_lo_u32 v7, s1, v4
	v_mul_hi_u32 v7, v4, v7
	v_add_nc_u32_e32 v4, v4, v7
	v_mul_hi_u32 v4, v5, v4
	v_mul_lo_u32 v7, v4, s18
	v_add_nc_u32_e32 v8, 1, v4
	v_sub_nc_u32_e32 v7, v5, v7
	v_subrev_nc_u32_e32 v9, s18, v7
	v_cmp_le_u32_e32 vcc_lo, s18, v7
	v_cndmask_b32_e32 v7, v7, v9, vcc_lo
	v_cndmask_b32_e32 v4, v4, v8, vcc_lo
	v_cmp_le_u32_e32 vcc_lo, s18, v7
	v_add_nc_u32_e32 v8, 1, v4
	v_cndmask_b32_e32 v7, v4, v8, vcc_lo
	v_mov_b32_e32 v8, v3
.LBB0_6:                                ;   in Loop: Header=BB0_2 Depth=1
	s_or_b32 exec_lo, exec_lo, s0
	s_load_dwordx2 s[0:1], s[6:7], 0x0
	v_mul_lo_u32 v4, v8, s18
	v_mul_lo_u32 v11, v7, s19
	v_mad_u64_u32 v[9:10], null, v7, s18, 0
	s_add_u32 s16, s16, 1
	s_addc_u32 s17, s17, 0
	s_add_u32 s6, s6, 8
	s_addc_u32 s7, s7, 0
	;; [unrolled: 2-line block ×3, first 2 shown]
	v_add3_u32 v4, v10, v11, v4
	v_sub_co_u32 v5, vcc_lo, v5, v9
	v_sub_co_ci_u32_e32 v4, vcc_lo, v6, v4, vcc_lo
	s_waitcnt lgkmcnt(0)
	v_mul_lo_u32 v6, s1, v5
	v_mul_lo_u32 v4, s0, v4
	v_mad_u64_u32 v[1:2], null, s0, v5, v[1:2]
	v_cmp_ge_u64_e64 s0, s[16:17], s[10:11]
	s_and_b32 vcc_lo, exec_lo, s0
	v_add3_u32 v2, v6, v2, v4
	s_cbranch_vccnz .LBB0_9
; %bb.7:                                ;   in Loop: Header=BB0_2 Depth=1
	v_mov_b32_e32 v5, v7
	v_mov_b32_e32 v6, v8
	s_branch .LBB0_2
.LBB0_8:
	v_mov_b32_e32 v8, v6
	v_mov_b32_e32 v7, v5
.LBB0_9:
	s_lshl_b64 s[0:1], s[10:11], 3
	v_mul_hi_u32 v5, 0x1c71c72, v0
	s_add_u32 s0, s12, s0
	s_addc_u32 s1, s13, s1
                                        ; implicit-def: $vgpr42_vgpr43
                                        ; implicit-def: $vgpr86_vgpr87
                                        ; implicit-def: $vgpr54_vgpr55
                                        ; implicit-def: $vgpr50_vgpr51
                                        ; implicit-def: $vgpr78_vgpr79
                                        ; implicit-def: $vgpr58_vgpr59
                                        ; implicit-def: $vgpr34_vgpr35
                                        ; implicit-def: $vgpr74_vgpr75
                                        ; implicit-def: $vgpr10_vgpr11
                                        ; implicit-def: $vgpr18_vgpr19
                                        ; implicit-def: $vgpr22_vgpr23
                                        ; implicit-def: $vgpr14_vgpr15
                                        ; implicit-def: $vgpr30_vgpr31
                                        ; implicit-def: $vgpr26_vgpr27
                                        ; implicit-def: $vgpr62_vgpr63
                                        ; implicit-def: $vgpr38_vgpr39
                                        ; implicit-def: $vgpr46_vgpr47
                                        ; implicit-def: $vgpr66_vgpr67
                                        ; implicit-def: $vgpr90_vgpr91
                                        ; implicit-def: $vgpr82_vgpr83
                                        ; implicit-def: $vgpr70_vgpr71
                                        ; implicit-def: $vgpr94_vgpr95
	s_load_dwordx2 s[0:1], s[0:1], 0x0
	s_load_dwordx2 s[4:5], s[4:5], 0x20
	s_waitcnt lgkmcnt(0)
	v_mul_lo_u32 v3, s0, v8
	v_mul_lo_u32 v4, s1, v7
	v_mad_u64_u32 v[1:2], null, s0, v7, v[1:2]
	v_cmp_gt_u64_e32 vcc_lo, s[4:5], v[7:8]
                                        ; implicit-def: $vgpr6_vgpr7
	v_add3_u32 v2, v4, v2, v3
	v_mul_u32_u24_e32 v3, 0x90, v5
	v_lshlrev_b64 v[108:109], 4, v[1:2]
	v_sub_nc_u32_e32 v110, v0, v3
                                        ; implicit-def: $vgpr2_vgpr3
	s_and_saveexec_b32 s1, vcc_lo
	s_cbranch_execz .LBB0_11
; %bb.10:
	v_mov_b32_e32 v111, 0
	v_add_co_u32 v12, s0, s2, v108
	v_add_co_ci_u32_e64 v13, s0, s3, v109, s0
	v_lshlrev_b64 v[0:1], 4, v[110:111]
	v_or_b32_e32 v4, 0x900, v110
	v_mov_b32_e32 v5, v111
	v_add_co_u32 v6, s0, v12, v0
	v_add_co_ci_u32_e64 v7, s0, v13, v1, s0
	v_lshlrev_b64 v[4:5], 4, v[4:5]
	v_add_co_u32 v8, s0, 0x2000, v6
	v_add_co_ci_u32_e64 v9, s0, 0, v7, s0
	v_add_co_u32 v10, s0, 0x4800, v6
	v_add_co_ci_u32_e64 v11, s0, 0, v7, s0
	s_clause 0x1
	global_load_dwordx4 v[0:3], v[6:7], off
	global_load_dwordx4 v[40:43], v[8:9], off offset:1024
	v_add_co_u32 v8, s0, 0x6800, v6
	v_add_co_ci_u32_e64 v9, s0, 0, v7, s0
	v_add_co_u32 v4, s0, v12, v4
	v_add_co_ci_u32_e64 v5, s0, v13, v5, s0
	;; [unrolled: 2-line block ×21, first 2 shown]
	s_clause 0x15
	global_load_dwordx4 v[84:87], v[10:11], off
	global_load_dwordx4 v[92:95], v[8:9], off offset:1024
	global_load_dwordx4 v[68:71], v[4:5], off
	global_load_dwordx4 v[52:55], v[12:13], off offset:1024
	global_load_dwordx4 v[48:51], v[14:15], off offset:256
	;; [unrolled: 1-line block ×19, first 2 shown]
.LBB0_11:
	s_or_b32 exec_lo, exec_lo, s1
	s_waitcnt vmcnt(18)
	v_add_f64 v[96:97], v[52:53], v[92:93]
	v_add_f64 v[98:99], v[54:55], v[94:95]
	s_waitcnt vmcnt(12)
	v_add_f64 v[100:101], v[76:77], v[64:65]
	v_add_f64 v[113:114], v[40:41], v[92:93]
	;; [unrolled: 1-line block ×3, first 2 shown]
	v_add_f64 v[94:95], v[94:95], -v[54:55]
	v_add_f64 v[92:93], v[92:93], -v[52:53]
	v_add_f64 v[119:120], v[78:79], v[66:67]
	v_add_f64 v[125:126], v[78:79], -v[66:67]
	s_mov_b32 s6, 0xe8584caa
	s_mov_b32 s7, 0x3febb67a
	;; [unrolled: 1-line block ×4, first 2 shown]
	v_add_f64 v[102:103], v[84:85], v[0:1]
	v_add_f64 v[106:107], v[84:85], v[68:69]
	v_add_f64 v[111:112], v[86:87], v[70:71]
	v_add_f64 v[78:79], v[78:79], v[82:83]
	s_waitcnt vmcnt(9)
	v_add_f64 v[127:128], v[74:75], v[46:47]
	s_waitcnt vmcnt(7)
	v_add_f64 v[131:132], v[74:75], -v[62:63]
	v_add_f64 v[133:134], v[74:75], v[62:63]
	v_add_f64 v[121:122], v[56:57], v[88:89]
	;; [unrolled: 1-line block ×3, first 2 shown]
	v_fma_f64 v[40:41], v[96:97], -0.5, v[40:41]
	v_fma_f64 v[42:43], v[98:99], -0.5, v[42:43]
	v_add_f64 v[98:99], v[76:77], v[80:81]
	v_fma_f64 v[80:81], v[100:101], -0.5, v[80:81]
	v_add_f64 v[96:97], v[50:51], v[90:91]
	v_add_f64 v[76:77], v[76:77], -v[64:65]
	v_add_f64 v[100:101], v[72:73], v[44:45]
	v_fma_f64 v[74:75], v[119:120], -0.5, v[82:83]
	v_add_f64 v[129:130], v[72:73], v[60:61]
	v_add_f64 v[86:87], v[86:87], -v[70:71]
	v_add_f64 v[84:85], v[84:85], -v[68:69]
	v_add_f64 v[117:118], v[48:49], v[88:89]
	v_add_f64 v[123:124], v[58:59], v[90:91]
	v_add_f64 v[90:91], v[90:91], -v[58:59]
	s_waitcnt vmcnt(6)
	v_add_f64 v[119:120], v[10:11], v[38:39]
	s_waitcnt vmcnt(0)
	v_add_f64 v[141:142], v[20:21], v[12:13]
	v_add_f64 v[68:69], v[68:69], v[102:103]
	v_fma_f64 v[0:1], v[106:107], -0.5, v[0:1]
	v_fma_f64 v[2:3], v[111:112], -0.5, v[2:3]
	v_add_f64 v[137:138], v[38:39], -v[10:11]
	v_fma_f64 v[48:49], v[121:122], -0.5, v[48:49]
	v_add_f64 v[70:71], v[70:71], v[104:105]
	v_fma_f64 v[82:83], v[94:95], s[6:7], v[40:41]
	v_fma_f64 v[135:136], v[92:93], s[6:7], v[42:43]
	;; [unrolled: 1-line block ×5, first 2 shown]
	v_add_f64 v[94:95], v[72:73], -v[60:61]
	v_add_f64 v[72:73], v[8:9], v[36:37]
	v_fma_f64 v[42:43], v[92:93], s[4:5], v[42:43]
	v_add_f64 v[96:97], v[58:59], v[96:97]
	v_fma_f64 v[92:93], v[76:77], s[6:7], v[74:75]
	;; [unrolled: 2-line block ×3, first 2 shown]
	v_add_f64 v[111:112], v[62:63], v[127:128]
	v_add_f64 v[88:89], v[88:89], -v[56:57]
	v_add_f64 v[139:140], v[36:37], -v[8:9]
	;; [unrolled: 1-line block ×3, first 2 shown]
	v_add_f64 v[52:53], v[52:53], v[113:114]
	v_add_f64 v[54:55], v[54:55], v[115:116]
	;; [unrolled: 1-line block ×4, first 2 shown]
	v_fma_f64 v[113:114], v[119:120], -0.5, v[34:35]
	v_fma_f64 v[115:116], v[141:142], -0.5, v[24:25]
	v_mul_f64 v[102:103], v[82:83], 0.5
	v_mul_f64 v[58:59], v[82:83], s[4:5]
	v_mul_f64 v[82:83], v[135:136], -0.5
	v_mul_f64 v[104:105], v[40:41], -0.5
	;; [unrolled: 1-line block ×3, first 2 shown]
	v_mul_f64 v[76:77], v[143:144], 0.5
	v_fma_f64 v[62:63], v[72:73], -0.5, v[32:33]
	v_fma_f64 v[64:65], v[86:87], s[6:7], v[0:1]
	v_fma_f64 v[119:120], v[84:85], s[4:5], v[2:3]
	;; [unrolled: 1-line block ×3, first 2 shown]
	v_fma_f64 v[50:51], v[123:124], -0.5, v[50:51]
	v_fma_f64 v[72:73], v[86:87], s[4:5], v[0:1]
	v_mul_f64 v[86:87], v[143:144], s[4:5]
	v_mul_f64 v[117:118], v[92:93], -0.5
	v_fma_f64 v[123:124], v[90:91], s[6:7], v[48:49]
	v_fma_f64 v[90:91], v[90:91], s[4:5], v[48:49]
	v_add_f64 v[78:79], v[66:67], v[78:79]
	v_fma_f64 v[121:122], v[125:126], -0.5, v[26:27]
	v_add_f64 v[147:148], v[20:21], -v[12:13]
	v_add_f64 v[100:101], v[60:61], v[100:101]
	v_add_f64 v[0:1], v[52:53], v[68:69]
	;; [unrolled: 1-line block ×3, first 2 shown]
	v_fma_f64 v[102:103], v[42:43], s[6:7], v[102:103]
	v_fma_f64 v[58:59], v[42:43], 0.5, v[58:59]
	v_fma_f64 v[82:83], v[40:41], s[4:5], v[82:83]
	v_fma_f64 v[104:105], v[135:136], s[6:7], v[104:105]
	;; [unrolled: 1-line block ×6, first 2 shown]
	v_add_f64 v[42:43], v[68:69], -v[52:53]
	v_add_f64 v[66:67], v[70:71], -v[54:55]
	v_add_f64 v[48:49], v[56:57], v[98:99]
	v_fma_f64 v[106:107], v[88:89], s[4:5], v[50:51]
	v_fma_f64 v[86:87], v[74:75], 0.5, v[86:87]
	v_fma_f64 v[88:89], v[88:89], s[6:7], v[50:51]
	v_add_f64 v[32:33], v[32:33], v[36:37]
	v_fma_f64 v[44:45], v[129:130], -0.5, v[44:45]
	v_add_f64 v[36:37], v[96:97], -v[78:79]
	v_fma_f64 v[80:81], v[80:81], s[4:5], v[117:118]
	v_fma_f64 v[46:47], v[133:134], -0.5, v[46:47]
	v_add_f64 v[20:21], v[20:21], v[24:25]
	v_add_f64 v[38:39], v[34:35], v[38:39]
	;; [unrolled: 1-line block ×4, first 2 shown]
	v_add_f64 v[52:53], v[64:65], -v[102:103]
	v_add_f64 v[62:63], v[119:120], v[58:59]
	v_add_f64 v[64:65], v[84:85], v[82:83]
	v_add_f64 v[68:69], v[119:120], -v[58:59]
	v_add_f64 v[70:71], v[84:85], -v[82:83]
	;; [unrolled: 1-line block ×3, first 2 shown]
	v_fma_f64 v[82:83], v[139:140], s[6:7], v[113:114]
	v_add_f64 v[84:85], v[4:5], v[28:29]
	v_fma_f64 v[98:99], v[145:146], s[6:7], v[115:116]
	v_add_f64 v[56:57], v[90:91], v[92:93]
	v_add_f64 v[74:75], v[90:91], -v[92:93]
	v_fma_f64 v[90:91], v[145:146], s[4:5], v[115:116]
	v_add_f64 v[40:41], v[72:73], v[104:105]
	v_add_f64 v[54:55], v[72:73], -v[104:105]
	v_add_f64 v[50:51], v[123:124], v[76:77]
	v_add_f64 v[72:73], v[123:124], -v[76:77]
	v_add_f64 v[76:77], v[96:97], v[78:79]
	v_fma_f64 v[96:97], v[139:140], s[4:5], v[113:114]
	v_mul_f64 v[104:105], v[127:128], 0.5
	v_mul_f64 v[113:114], v[125:126], -0.5
	v_add_f64 v[92:93], v[6:7], v[30:31]
	v_fma_f64 v[102:103], v[147:148], s[6:7], v[121:122]
	v_add_f64 v[115:116], v[16:17], v[28:29]
	v_mul_f64 v[117:118], v[127:128], s[4:5]
	v_add_f64 v[119:120], v[30:31], -v[6:7]
	v_add_f64 v[129:130], v[8:9], v[32:33]
	v_add_f64 v[8:9], v[28:29], -v[4:5]
	v_fma_f64 v[26:27], v[131:132], s[6:7], v[44:45]
	v_mul_f64 v[24:25], v[82:83], -0.5
	v_fma_f64 v[16:17], v[84:85], -0.5, v[16:17]
	v_fma_f64 v[84:85], v[147:148], s[4:5], v[121:122]
	v_mul_f64 v[121:122], v[98:99], 0.5
	v_mul_f64 v[28:29], v[98:99], s[4:5]
	v_mul_f64 v[123:124], v[90:91], -0.5
	v_fma_f64 v[44:45], v[131:132], s[4:5], v[44:45]
	v_add_f64 v[127:128], v[18:19], v[30:31]
	v_add_f64 v[20:21], v[12:13], v[20:21]
	;; [unrolled: 1-line block ×4, first 2 shown]
	v_add_f64 v[30:31], v[106:107], -v[86:87]
	v_fma_f64 v[98:99], v[96:97], s[6:7], v[104:105]
	v_fma_f64 v[104:105], v[82:83], s[6:7], v[113:114]
	v_fma_f64 v[18:19], v[92:93], -0.5, v[18:19]
	v_fma_f64 v[113:114], v[94:95], s[4:5], v[46:47]
	v_add_f64 v[115:116], v[4:5], v[115:116]
	v_fma_f64 v[96:97], v[96:97], 0.5, v[117:118]
	v_fma_f64 v[46:47], v[94:95], s[6:7], v[46:47]
	v_mul_f64 v[92:93], v[102:103], -0.5
	v_add_f64 v[4:5], v[129:130], v[100:101]
	v_add_f64 v[10:11], v[100:101], -v[129:130]
	v_fma_f64 v[94:95], v[125:126], s[4:5], v[24:25]
	v_fma_f64 v[24:25], v[119:120], s[6:7], v[16:17]
	;; [unrolled: 1-line block ×4, first 2 shown]
	v_add_f64 v[121:122], v[14:15], v[22:23]
	v_fma_f64 v[102:103], v[102:103], s[6:7], v[123:124]
	v_add_f64 v[34:35], v[88:89], v[80:81]
	v_add_f64 v[106:107], v[6:7], v[127:128]
	v_add_f64 v[32:33], v[88:89], -v[80:81]
	v_fma_f64 v[28:29], v[84:85], 0.5, v[28:29]
	v_add_f64 v[80:81], v[38:39], v[111:112]
	v_add_f64 v[86:87], v[111:112], -v[38:39]
	v_add_f64 v[12:13], v[26:27], -v[98:99]
	;; [unrolled: 1-line block ×3, first 2 shown]
	v_fma_f64 v[123:124], v[8:9], s[4:5], v[18:19]
	v_fma_f64 v[125:126], v[8:9], s[6:7], v[18:19]
	v_add_f64 v[16:17], v[115:116], v[20:21]
	v_add_f64 v[22:23], v[115:116], -v[20:21]
	v_add_f64 v[6:7], v[26:27], v[98:99]
	v_add_f64 v[8:9], v[44:45], v[104:105]
	v_fma_f64 v[92:93], v[90:91], s[4:5], v[92:93]
	v_mul_u32_u24_e32 v38, 6, v110
	v_add_f64 v[82:83], v[113:114], v[96:97]
	v_add_f64 v[88:89], v[113:114], -v[96:97]
	v_and_b32_e32 v96, 0xff, v110
	v_add_f64 v[18:19], v[24:25], v[117:118]
	v_add_f64 v[24:25], v[24:25], -v[117:118]
	v_add_f64 v[20:21], v[119:120], v[102:103]
	v_add_f64 v[26:27], v[119:120], -v[102:103]
	v_lshl_add_u32 v105, v38, 3, 0
	ds_write_b128 v105, v[0:3]
	ds_write_b128 v105, v[40:43] offset:16
	ds_write_b128 v105, v[52:55] offset:32
	;; [unrolled: 1-line block ×7, first 2 shown]
	v_add_nc_u32_e32 v141, 0x90, v110
	ds_write_b128 v105, v[12:15] offset:13856
	ds_write_b128 v105, v[16:19] offset:20736
	;; [unrolled: 1-line block ×4, first 2 shown]
	v_mul_lo_u16 v24, 0xab, v96
	v_mov_b32_e32 v25, 0xaaab
	v_add_f64 v[90:91], v[46:47], -v[94:95]
	v_add_f64 v[101:102], v[106:107], v[121:122]
	v_add_f64 v[103:104], v[123:124], v[28:29]
	v_lshrrev_b16 v100, 10, v24
	v_mul_u32_u24_sdwa v24, v141, v25 dst_sel:DWORD dst_unused:UNUSED_PAD src0_sel:WORD_0 src1_sel:DWORD
	v_add_f64 v[115:116], v[123:124], -v[28:29]
	v_add_f64 v[117:118], v[125:126], -v[92:93]
	v_add_f64 v[84:85], v[46:47], v[94:95]
	v_add_f64 v[111:112], v[125:126], v[92:93]
	v_lshrrev_b32_e32 v98, 18, v24
	v_add_f64 v[113:114], v[106:107], -v[121:122]
	v_mul_lo_u16 v42, v100, 6
	v_mad_i32_i24 v127, 0xffffffd8, v110, v105
	v_mov_b32_e32 v95, 5
	v_mul_lo_u16 v24, v98, 6
	s_waitcnt lgkmcnt(0)
	v_sub_nc_u16 v99, v110, v42
	v_add_nc_u32_e32 v134, 0x2400, v127
	v_add_nc_u32_e32 v131, 0x1800, v127
	;; [unrolled: 1-line block ×3, first 2 shown]
	v_sub_nc_u16 v97, v141, v24
	v_add_nc_u32_e32 v94, 0x1000, v127
	v_add_nc_u32_e32 v128, 0x3400, v127
	;; [unrolled: 1-line block ×8, first 2 shown]
	v_mul_u32_u24_sdwa v24, v99, v95 dst_sel:DWORD dst_unused:UNUSED_PAD src0_sel:BYTE_0 src1_sel:DWORD
	s_barrier
	buffer_gl0_inv
	ds_read2_b64 v[0:3], v127 offset1:144
	ds_read2_b64 v[26:29], v94 offset0:64 offset1:208
	ds_read2_b64 v[38:41], v134 offset1:144
	ds_read2_b64 v[52:55], v128 offset0:64 offset1:208
	;; [unrolled: 2-line block ×3, first 2 shown]
	ds_read2_b64 v[4:7], v130 offset0:32 offset1:176
	ds_read2_b64 v[56:59], v131 offset0:96 offset1:240
	;; [unrolled: 1-line block ×6, first 2 shown]
	s_waitcnt lgkmcnt(0)
	s_barrier
	buffer_gl0_inv
	ds_write_b128 v105, v[60:63]
	ds_write_b128 v105, v[64:67] offset:16
	ds_write_b128 v105, v[68:71] offset:32
	;; [unrolled: 1-line block ×5, first 2 shown]
	v_mul_u32_u24_sdwa v30, v97, v95 dst_sel:DWORD dst_unused:UNUSED_PAD src0_sel:WORD_0 src1_sel:DWORD
	v_lshlrev_b32_e32 v24, 4, v24
	ds_write_b128 v105, v[80:83] offset:13824
	ds_write_b128 v105, v[84:87] offset:13840
	;; [unrolled: 1-line block ×5, first 2 shown]
	v_lshlrev_b32_e32 v42, 4, v30
	ds_write_b128 v105, v[115:118] offset:20768
	s_waitcnt lgkmcnt(0)
	s_barrier
	buffer_gl0_inv
	s_clause 0x7
	global_load_dwordx4 v[30:33], v24, s[8:9]
	global_load_dwordx4 v[34:37], v42, s[8:9]
	global_load_dwordx4 v[68:71], v24, s[8:9] offset:16
	global_load_dwordx4 v[76:79], v42, s[8:9] offset:16
	;; [unrolled: 1-line block ×6, first 2 shown]
	v_add_nc_u32_e32 v138, 0x120, v110
	v_add_nc_u32_e32 v139, 0x1b0, v110
	s_clause 0x1
	global_load_dwordx4 v[119:122], v24, s[8:9] offset:64
	global_load_dwordx4 v[123:126], v42, s[8:9] offset:64
	ds_read2_b64 v[72:75], v94 offset0:64 offset1:208
	v_mul_u32_u24_sdwa v43, v138, v25 dst_sel:DWORD dst_unused:UNUSED_PAD src0_sel:WORD_0 src1_sel:DWORD
	v_mul_u32_u24_sdwa v24, v139, v25 dst_sel:DWORD dst_unused:UNUSED_PAD src0_sel:WORD_0 src1_sel:DWORD
	ds_read2_b64 v[84:87], v134 offset1:144
	v_mov_b32_e32 v107, 0x120
	v_mov_b32_e32 v140, 3
	v_lshrrev_b32_e32 v101, 18, v43
	v_lshrrev_b32_e32 v104, 18, v24
	v_cmp_gt_u32_e64 s0, 0x48, v110
	v_mul_u32_u24_sdwa v100, v100, v107 dst_sel:DWORD dst_unused:UNUSED_PAD src0_sel:WORD_0 src1_sel:DWORD
	v_mul_u32_u24_e32 v107, 0x120, v98
	v_mul_lo_u16 v25, v101, 6
	v_mul_lo_u16 v24, v104, 6
	v_lshlrev_b32_sdwa v98, v140, v99 dst_sel:DWORD dst_unused:UNUSED_PAD src0_sel:DWORD src1_sel:BYTE_0
	v_lshlrev_b32_sdwa v97, v140, v97 dst_sel:DWORD dst_unused:UNUSED_PAD src0_sel:DWORD src1_sel:WORD_0
	v_sub_nc_u16 v103, v138, v25
	v_sub_nc_u16 v102, v139, v24
	v_add3_u32 v98, 0, v100, v98
	v_add3_u32 v97, 0, v107, v97
	v_mul_u32_u24_sdwa v25, v103, v95 dst_sel:DWORD dst_unused:UNUSED_PAD src0_sel:WORD_0 src1_sel:DWORD
	v_mul_u32_u24_sdwa v24, v102, v95 dst_sel:DWORD dst_unused:UNUSED_PAD src0_sel:WORD_0 src1_sel:DWORD
	v_lshlrev_b32_sdwa v107, v140, v102 dst_sel:DWORD dst_unused:UNUSED_PAD src0_sel:DWORD src1_sel:WORD_0
	v_lshlrev_b32_e32 v105, 4, v25
	v_lshlrev_b32_e32 v106, 4, v24
	s_clause 0x3
	global_load_dwordx4 v[142:145], v105, s[8:9]
	global_load_dwordx4 v[150:153], v105, s[8:9] offset:16
	global_load_dwordx4 v[146:149], v106, s[8:9]
	global_load_dwordx4 v[154:157], v106, s[8:9] offset:16
	s_waitcnt vmcnt(13) lgkmcnt(1)
	v_mul_f64 v[24:25], v[72:73], v[32:33]
	s_waitcnt vmcnt(12)
	v_mul_f64 v[42:43], v[74:75], v[36:37]
	v_mul_f64 v[32:33], v[26:27], v[32:33]
	;; [unrolled: 1-line block ×3, first 2 shown]
	s_waitcnt vmcnt(11) lgkmcnt(0)
	v_mul_f64 v[92:93], v[84:85], v[70:71]
	v_mul_f64 v[70:71], v[38:39], v[70:71]
	v_fma_f64 v[62:63], v[26:27], v[30:31], -v[24:25]
	global_load_dwordx4 v[24:27], v105, s[8:9] offset:48
	v_fma_f64 v[66:67], v[28:29], v[34:35], -v[42:43]
	s_waitcnt vmcnt(11)
	v_mul_f64 v[42:43], v[86:87], v[78:79]
	v_fma_f64 v[60:61], v[72:73], v[30:31], v[32:33]
	global_load_dwordx4 v[28:31], v106, s[8:9] offset:48
	v_fma_f64 v[64:65], v[74:75], v[34:35], v[36:37]
	s_clause 0x1
	global_load_dwordx4 v[158:161], v105, s[8:9] offset:32
	global_load_dwordx4 v[32:35], v106, s[8:9] offset:32
	v_fma_f64 v[72:73], v[38:39], v[68:69], -v[92:93]
	global_load_dwordx4 v[36:39], v105, s[8:9] offset:64
	v_fma_f64 v[68:69], v[84:85], v[68:69], v[70:71]
	v_mul_f64 v[70:71], v[40:41], v[78:79]
	ds_read2_b64 v[162:165], v128 offset0:64 offset1:208
	s_waitcnt vmcnt(14)
	v_mul_f64 v[78:79], v[52:53], v[82:83]
	v_fma_f64 v[74:75], v[40:41], v[76:77], -v[42:43]
	global_load_dwordx4 v[40:43], v106, s[8:9] offset:64
	s_waitcnt vmcnt(10)
	v_mul_f64 v[105:106], v[46:47], v[125:126]
	v_fma_f64 v[70:71], v[86:87], v[76:77], v[70:71]
	s_waitcnt lgkmcnt(0)
	v_mul_f64 v[76:77], v[162:163], v[82:83]
	v_fma_f64 v[78:79], v[162:163], v[80:81], v[78:79]
	v_fma_f64 v[86:87], v[52:53], v[80:81], -v[76:77]
	v_mul_f64 v[52:53], v[164:165], v[90:91]
	v_mul_f64 v[76:77], v[54:55], v[90:91]
	ds_read2_b64 v[90:93], v137 offset1:144
	v_fma_f64 v[84:85], v[54:55], v[88:89], -v[52:53]
	s_waitcnt lgkmcnt(0)
	v_mul_f64 v[54:55], v[90:91], v[113:114]
	v_fma_f64 v[52:53], v[164:165], v[88:89], v[76:77]
	v_mul_f64 v[76:77], v[48:49], v[113:114]
	v_mul_f64 v[80:81], v[92:93], v[117:118]
	;; [unrolled: 1-line block ×3, first 2 shown]
	v_fma_f64 v[82:83], v[48:49], v[111:112], -v[54:55]
	v_mul_f64 v[54:55], v[50:51], v[117:118]
	v_fma_f64 v[48:49], v[90:91], v[111:112], v[76:77]
	ds_read2_b64 v[111:114], v132 offset0:64 offset1:208
	v_fma_f64 v[80:81], v[50:51], v[115:116], -v[80:81]
	s_waitcnt lgkmcnt(0)
	v_mul_f64 v[76:77], v[111:112], v[121:122]
	v_fma_f64 v[50:51], v[92:93], v[115:116], v[54:55]
	v_mul_f64 v[92:93], v[113:114], v[125:126]
	ds_read2_b64 v[115:118], v131 offset0:96 offset1:240
	v_fma_f64 v[54:55], v[111:112], v[119:120], v[88:89]
	s_waitcnt vmcnt(7)
	v_mul_f64 v[111:112], v[58:59], v[148:149]
	v_mul_f64 v[125:126], v[20:21], v[152:153]
	v_fma_f64 v[90:91], v[44:45], v[119:120], -v[76:77]
	ds_read2_b64 v[119:122], v136 offset0:32 offset1:176
	v_fma_f64 v[88:89], v[46:47], v[123:124], -v[92:93]
	s_waitcnt lgkmcnt(1)
	v_mul_f64 v[44:45], v[115:116], v[144:145]
	v_mul_f64 v[46:47], v[56:57], v[144:145]
	v_fma_f64 v[76:77], v[113:114], v[123:124], v[105:106]
	v_mul_f64 v[105:106], v[117:118], v[148:149]
	s_waitcnt vmcnt(6)
	v_mul_f64 v[144:145], v[22:23], v[156:157]
	v_mul_u32_u24_e32 v148, 0x120, v101
	v_mul_u32_u24_e32 v149, 0x120, v104
	s_waitcnt lgkmcnt(0)
	v_mul_f64 v[123:124], v[119:120], v[152:153]
	v_fma_f64 v[119:120], v[119:120], v[150:151], v[125:126]
	v_fma_f64 v[92:93], v[56:57], v[142:143], -v[44:45]
	v_fma_f64 v[56:57], v[115:116], v[142:143], v[46:47]
	ds_read2_b64 v[44:47], v129 offset0:32 offset1:176
	v_fma_f64 v[58:59], v[58:59], v[146:147], -v[105:106]
	v_mul_f64 v[105:106], v[121:122], v[156:157]
	v_fma_f64 v[142:143], v[117:118], v[146:147], v[111:112]
	ds_read2_b64 v[111:114], v135 offset0:96 offset1:240
	ds_read2_b64 v[115:118], v133 offset0:96 offset1:240
	v_fma_f64 v[101:102], v[121:122], v[154:155], v[144:145]
	v_fma_f64 v[20:21], v[20:21], v[150:151], -v[123:124]
	v_lshlrev_b32_sdwa v150, v140, v103 dst_sel:DWORD dst_unused:UNUSED_PAD src0_sel:DWORD src1_sel:WORD_0
	v_fma_f64 v[22:23], v[22:23], v[154:155], -v[105:106]
	v_add_f64 v[152:153], v[4:5], v[20:21]
	v_add_f64 v[154:155], v[6:7], v[22:23]
	s_waitcnt vmcnt(5) lgkmcnt(2)
	v_mul_f64 v[123:124], v[44:45], v[26:27]
	v_mul_f64 v[121:122], v[16:17], v[26:27]
	v_add3_u32 v27, 0, v148, v150
	v_add3_u32 v26, 0, v149, v107
	s_waitcnt vmcnt(4)
	v_mul_f64 v[125:126], v[46:47], v[30:31]
	s_waitcnt vmcnt(3) lgkmcnt(1)
	v_mul_f64 v[99:100], v[111:112], v[160:161]
	s_waitcnt vmcnt(2)
	v_mul_f64 v[105:106], v[113:114], v[34:35]
	v_mul_f64 v[34:35], v[14:15], v[34:35]
	;; [unrolled: 1-line block ×3, first 2 shown]
	s_waitcnt vmcnt(1) lgkmcnt(0)
	v_mul_f64 v[144:145], v[115:116], v[38:39]
	v_mul_f64 v[30:31], v[18:19], v[30:31]
	;; [unrolled: 1-line block ×3, first 2 shown]
	v_fma_f64 v[123:124], v[16:17], v[24:25], -v[123:124]
	v_fma_f64 v[24:25], v[44:45], v[24:25], v[121:122]
	v_add_f64 v[44:45], v[62:63], v[86:87]
	s_waitcnt vmcnt(0)
	v_mul_f64 v[146:147], v[117:118], v[42:43]
	v_mul_f64 v[42:43], v[10:11], v[42:43]
	v_fma_f64 v[125:126], v[18:19], v[28:29], -v[125:126]
	v_fma_f64 v[99:100], v[12:13], v[158:159], -v[99:100]
	v_fma_f64 v[105:106], v[14:15], v[32:33], -v[105:106]
	v_fma_f64 v[32:33], v[113:114], v[32:33], v[34:35]
	v_add_f64 v[34:35], v[72:73], v[82:83]
	v_fma_f64 v[103:104], v[111:112], v[158:159], v[103:104]
	v_fma_f64 v[8:9], v[8:9], v[36:37], -v[144:145]
	v_fma_f64 v[28:29], v[46:47], v[28:29], v[30:31]
	v_fma_f64 v[30:31], v[115:116], v[36:37], v[38:39]
	v_add_f64 v[36:37], v[74:75], v[80:81]
	v_add_f64 v[46:47], v[86:87], v[90:91]
	;; [unrolled: 1-line block ×5, first 2 shown]
	ds_read2_b64 v[16:19], v127 offset1:144
	v_add_f64 v[121:122], v[66:67], v[84:85]
	v_add_f64 v[86:87], v[86:87], -v[90:91]
	v_add_f64 v[115:116], v[78:79], -v[54:55]
	;; [unrolled: 1-line block ×3, first 2 shown]
	v_add_f64 v[44:45], v[44:45], v[90:91]
	v_fma_f64 v[10:11], v[10:11], v[40:41], -v[146:147]
	v_fma_f64 v[38:39], v[117:118], v[40:41], v[42:43]
	v_add_f64 v[40:41], v[20:21], v[123:124]
	v_add_f64 v[42:43], v[22:23], v[125:126]
	;; [unrolled: 1-line block ×4, first 2 shown]
	v_fma_f64 v[0:1], v[34:35], -0.5, v[0:1]
	v_add_f64 v[34:35], v[58:59], v[105:106]
	v_add_f64 v[150:151], v[99:100], v[8:9]
	;; [unrolled: 1-line block ×4, first 2 shown]
	v_fma_f64 v[2:3], v[36:37], -0.5, v[2:3]
	v_add_f64 v[90:91], v[68:69], v[48:49]
	v_fma_f64 v[46:47], v[46:47], -0.5, v[62:63]
	v_add_f64 v[62:63], v[70:71], v[50:51]
	v_add_f64 v[99:100], v[99:100], -v[8:9]
	v_add_f64 v[72:73], v[72:73], -v[82:83]
	v_add_f64 v[82:83], v[111:112], v[82:83]
	v_fma_f64 v[66:67], v[144:145], -0.5, v[66:67]
	ds_read2_b64 v[12:15], v130 offset0:32 offset1:176
	s_waitcnt lgkmcnt(1)
	v_add_f64 v[111:112], v[18:19], v[70:71]
	v_add_f64 v[70:71], v[70:71], -v[50:51]
	v_add_f64 v[36:37], v[105:106], v[10:11]
	v_add_f64 v[105:106], v[105:106], -v[10:11]
	v_fma_f64 v[4:5], v[40:41], -0.5, v[4:5]
	v_add_f64 v[40:41], v[32:33], v[38:39]
	v_fma_f64 v[6:7], v[42:43], -0.5, v[6:7]
	v_add_f64 v[42:43], v[60:61], v[78:79]
	;; [unrolled: 2-line block ×3, first 2 shown]
	v_add_f64 v[8:9], v[148:149], v[8:9]
	v_add_f64 v[148:149], v[64:65], v[52:53]
	v_add_f64 v[68:69], v[68:69], -v[48:49]
	v_add_f64 v[10:11], v[34:35], v[10:11]
	v_fma_f64 v[34:35], v[146:147], -0.5, v[64:65]
	v_add_f64 v[52:53], v[52:53], -v[76:77]
	v_fma_f64 v[92:93], v[150:151], -0.5, v[92:93]
	v_add_f64 v[150:151], v[56:57], v[103:104]
	v_fma_f64 v[56:57], v[156:157], -0.5, v[56:57]
	v_add_f64 v[74:75], v[74:75], -v[80:81]
	v_add_f64 v[88:89], v[121:122], v[88:89]
	v_add_f64 v[80:81], v[117:118], v[80:81]
	v_add_f64 v[103:104], v[103:104], -v[30:31]
	v_add_f64 v[121:122], v[119:120], v[24:25]
	v_add_f64 v[20:21], v[20:21], -v[123:124]
	v_add_f64 v[123:124], v[152:153], v[123:124]
	v_add_f64 v[152:153], v[142:143], v[32:33]
	v_fma_f64 v[40:41], v[40:41], -0.5, v[142:143]
	v_add_f64 v[32:33], v[32:33], -v[38:39]
	v_fma_f64 v[36:37], v[36:37], -0.5, v[58:59]
	v_add_f64 v[58:59], v[154:155], v[125:126]
	v_fma_f64 v[16:17], v[90:91], -0.5, v[16:17]
	v_fma_f64 v[18:19], v[62:63], -0.5, v[18:19]
	v_fma_f64 v[62:63], v[86:87], s[4:5], v[60:61]
	v_fma_f64 v[64:65], v[115:116], s[6:7], v[46:47]
	v_fma_f64 v[46:47], v[115:116], s[4:5], v[46:47]
	s_waitcnt lgkmcnt(0)
	v_add_f64 v[113:114], v[12:13], v[119:120]
	v_add_f64 v[144:145], v[101:102], v[28:29]
	;; [unrolled: 1-line block ×4, first 2 shown]
	v_fma_f64 v[76:77], v[68:69], s[6:7], v[0:1]
	v_fma_f64 v[0:1], v[68:69], s[4:5], v[0:1]
	;; [unrolled: 1-line block ×3, first 2 shown]
	v_add_f64 v[48:49], v[78:79], v[48:49]
	v_add_f64 v[78:79], v[82:83], v[44:45]
	v_add_f64 v[44:45], v[82:83], -v[44:45]
	v_fma_f64 v[82:83], v[52:53], s[6:7], v[66:67]
	v_fma_f64 v[52:53], v[52:53], s[4:5], v[66:67]
	v_add_f64 v[117:118], v[14:15], v[101:102]
	v_fma_f64 v[60:61], v[86:87], s[6:7], v[60:61]
	v_fma_f64 v[86:87], v[70:71], s[6:7], v[2:3]
	;; [unrolled: 1-line block ×4, first 2 shown]
	v_add_f64 v[119:120], v[119:120], -v[24:25]
	v_add_f64 v[90:91], v[80:81], v[88:89]
	v_add_f64 v[66:67], v[80:81], -v[88:89]
	v_fma_f64 v[80:81], v[103:104], s[6:7], v[92:93]
	v_fma_f64 v[92:93], v[103:104], s[4:5], v[92:93]
	v_add_f64 v[101:102], v[101:102], -v[28:29]
	v_fma_f64 v[12:13], v[121:122], -0.5, v[12:13]
	v_fma_f64 v[56:57], v[99:100], s[6:7], v[56:57]
	v_fma_f64 v[99:100], v[105:106], s[4:5], v[40:41]
	;; [unrolled: 1-line block ×5, first 2 shown]
	v_add_f64 v[50:51], v[111:112], v[50:51]
	v_add_f64 v[111:112], v[58:59], v[10:11]
	v_add_f64 v[10:11], v[58:59], -v[10:11]
	v_fma_f64 v[58:59], v[72:73], s[4:5], v[16:17]
	v_fma_f64 v[16:17], v[72:73], s[6:7], v[16:17]
	v_mul_f64 v[72:73], v[62:63], s[6:7]
	v_fma_f64 v[40:41], v[105:106], s[6:7], v[40:41]
	v_mul_f64 v[105:106], v[46:47], -0.5
	v_add_f64 v[22:23], v[22:23], -v[125:126]
	v_fma_f64 v[14:15], v[144:145], -0.5, v[14:15]
	v_add_f64 v[24:25], v[113:114], v[24:25]
	v_mul_f64 v[113:114], v[68:69], s[6:7]
	v_mul_f64 v[115:116], v[52:53], -0.5
	v_add_f64 v[28:29], v[117:118], v[28:29]
	v_mul_f64 v[117:118], v[70:71], s[6:7]
	v_fma_f64 v[84:85], v[119:120], s[6:7], v[4:5]
	v_fma_f64 v[4:5], v[119:120], s[4:5], v[4:5]
	v_mul_f64 v[119:120], v[92:93], -0.5
	v_fma_f64 v[36:37], v[101:102], s[6:7], v[6:7]
	v_fma_f64 v[6:7], v[101:102], s[4:5], v[6:7]
	v_add_f64 v[101:102], v[48:49], v[42:43]
	v_add_f64 v[48:49], v[48:49], -v[42:43]
	v_fma_f64 v[42:43], v[74:75], s[4:5], v[18:19]
	v_fma_f64 v[18:19], v[74:75], s[6:7], v[18:19]
	v_fma_f64 v[74:75], v[20:21], s[4:5], v[12:13]
	v_fma_f64 v[12:13], v[20:21], s[6:7], v[12:13]
	v_mul_f64 v[20:21], v[99:100], s[6:7]
	v_add_f64 v[88:89], v[123:124], v[8:9]
	v_add_f64 v[8:9], v[123:124], -v[8:9]
	v_mul_f64 v[123:124], v[32:33], -0.5
	v_mul_f64 v[125:126], v[64:65], s[4:5]
	v_mul_f64 v[142:143], v[60:61], -0.5
	v_mul_f64 v[144:145], v[82:83], s[4:5]
	v_mul_f64 v[146:147], v[34:35], -0.5
	v_fma_f64 v[64:65], v[64:65], 0.5, v[72:73]
	v_add_f64 v[30:31], v[150:151], v[30:31]
	v_mul_f64 v[150:151], v[56:57], -0.5
	v_fma_f64 v[60:61], v[60:61], s[6:7], v[105:106]
	v_mul_f64 v[148:149], v[80:81], s[4:5]
	v_fma_f64 v[121:122], v[22:23], s[4:5], v[14:15]
	v_fma_f64 v[105:106], v[22:23], s[6:7], v[14:15]
	v_fma_f64 v[14:15], v[82:83], 0.5, v[113:114]
	v_fma_f64 v[22:23], v[34:35], s[6:7], v[115:116]
	v_add_f64 v[156:157], v[50:51], v[54:55]
	v_add_f64 v[34:35], v[50:51], -v[54:55]
	v_fma_f64 v[54:55], v[80:81], 0.5, v[117:118]
	v_fma_f64 v[56:57], v[56:57], s[6:7], v[119:120]
	v_mul_f64 v[154:155], v[40:41], -0.5
	v_fma_f64 v[20:21], v[103:104], 0.5, v[20:21]
	v_add_f64 v[38:39], v[152:153], v[38:39]
	v_mul_f64 v[152:153], v[103:104], s[4:5]
	v_fma_f64 v[40:41], v[40:41], s[6:7], v[123:124]
	v_fma_f64 v[62:63], v[62:63], 0.5, v[125:126]
	v_fma_f64 v[46:47], v[46:47], s[4:5], v[142:143]
	v_fma_f64 v[68:69], v[68:69], 0.5, v[144:145]
	v_fma_f64 v[52:53], v[52:53], s[4:5], v[146:147]
	v_add_f64 v[82:83], v[76:77], v[64:65]
	v_add_f64 v[64:65], v[76:77], -v[64:65]
	v_fma_f64 v[72:73], v[92:93], s[4:5], v[150:151]
	v_add_f64 v[92:93], v[0:1], v[60:61]
	v_fma_f64 v[70:71], v[70:71], 0.5, v[148:149]
	v_add_f64 v[0:1], v[0:1], -v[60:61]
	v_add_f64 v[60:61], v[86:87], v[14:15]
	v_add_f64 v[76:77], v[2:3], v[22:23]
	v_add_f64 v[14:15], v[86:87], -v[14:15]
	v_add_f64 v[2:3], v[2:3], -v[22:23]
	v_add_f64 v[22:23], v[84:85], v[54:55]
	v_add_f64 v[86:87], v[4:5], v[56:57]
	v_add_f64 v[54:55], v[84:85], -v[54:55]
	v_add_f64 v[4:5], v[4:5], -v[56:57]
	v_add_f64 v[56:57], v[36:37], v[20:21]
	v_add_f64 v[20:21], v[36:37], -v[20:21]
	v_add_f64 v[84:85], v[6:7], v[40:41]
	v_add_f64 v[6:7], v[6:7], -v[40:41]
	v_fma_f64 v[80:81], v[99:100], 0.5, v[152:153]
	v_fma_f64 v[32:33], v[32:33], s[4:5], v[154:155]
	v_add_f64 v[36:37], v[58:59], v[62:63]
	v_add_f64 v[99:100], v[16:17], v[46:47]
	v_add_f64 v[103:104], v[58:59], -v[62:63]
	v_add_f64 v[46:47], v[16:17], -v[46:47]
	v_add_f64 v[113:114], v[42:43], v[68:69]
	v_add_f64 v[115:116], v[18:19], v[52:53]
	s_barrier
	buffer_gl0_inv
	ds_write2_b64 v98, v[78:79], v[82:83] offset1:6
	ds_write2_b64 v98, v[92:93], v[44:45] offset0:12 offset1:18
	ds_write2_b64 v98, v[64:65], v[0:1] offset0:24 offset1:30
	ds_write2_b64 v97, v[90:91], v[60:61] offset1:6
	ds_write2_b64 v97, v[76:77], v[66:67] offset0:12 offset1:18
	ds_write2_b64 v97, v[14:15], v[2:3] offset0:24 offset1:30
	;; [unrolled: 3-line block ×4, first 2 shown]
	v_mov_b32_e32 v66, 0xe38f
	v_add_f64 v[50:51], v[24:25], v[30:31]
	v_add_f64 v[68:69], v[42:43], -v[68:69]
	v_add_f64 v[117:118], v[18:19], -v[52:53]
	v_add_f64 v[119:120], v[74:75], v[70:71]
	v_add_f64 v[24:25], v[24:25], -v[30:31]
	v_add_f64 v[123:124], v[12:13], v[72:73]
	v_mul_lo_u16 v67, v96, 57
	v_mul_u32_u24_sdwa v76, v141, v66 dst_sel:DWORD dst_unused:UNUSED_PAD src0_sel:WORD_0 src1_sel:DWORD
	v_add_f64 v[30:31], v[28:29], v[38:39]
	v_add_f64 v[70:71], v[74:75], -v[70:71]
	v_add_f64 v[125:126], v[12:13], -v[72:73]
	v_lshrrev_b16 v145, 11, v67
	v_lshrrev_b32_e32 v142, 21, v76
	v_add_f64 v[28:29], v[28:29], -v[38:39]
	v_add_f64 v[38:39], v[121:122], v[80:81]
	v_add_f64 v[44:45], v[121:122], -v[80:81]
	v_add_f64 v[64:65], v[105:106], v[32:33]
	v_add_f64 v[32:33], v[105:106], -v[32:33]
	s_waitcnt lgkmcnt(0)
	s_barrier
	buffer_gl0_inv
	ds_read2_b64 v[0:3], v127 offset1:144
	ds_read2_b64 v[40:43], v94 offset0:64 offset1:208
	ds_read2_b64 v[72:75], v134 offset1:144
	ds_read2_b64 v[88:91], v128 offset0:64 offset1:208
	ds_read2_b64 v[60:63], v137 offset1:144
	ds_read2_b64 v[56:59], v132 offset0:64 offset1:208
	ds_read2_b64 v[4:7], v130 offset0:32 offset1:176
	ds_read2_b64 v[52:55], v131 offset0:96 offset1:240
	;; [unrolled: 1-line block ×6, first 2 shown]
	s_waitcnt lgkmcnt(0)
	s_barrier
	buffer_gl0_inv
	ds_write2_b64 v98, v[101:102], v[36:37] offset1:6
	ds_write2_b64 v98, v[99:100], v[48:49] offset0:12 offset1:18
	v_mul_lo_u16 v36, v145, 36
	ds_write2_b64 v98, v[103:104], v[46:47] offset0:24 offset1:30
	ds_write2_b64 v97, v[156:157], v[113:114] offset1:6
	ds_write2_b64 v97, v[115:116], v[34:35] offset0:12 offset1:18
	v_mul_lo_u16 v34, v142, 36
	ds_write2_b64 v97, v[68:69], v[117:118] offset0:24 offset1:30
	v_sub_nc_u16 v144, v110, v36
	ds_write2_b64 v27, v[50:51], v[119:120] offset1:6
	ds_write2_b64 v27, v[123:124], v[24:25] offset0:12 offset1:18
	ds_write2_b64 v27, v[70:71], v[125:126] offset0:24 offset1:30
	v_sub_nc_u16 v143, v141, v34
	ds_write2_b64 v26, v[30:31], v[38:39] offset1:6
	ds_write2_b64 v26, v[64:65], v[28:29] offset0:12 offset1:18
	v_mul_u32_u24_sdwa v24, v144, v95 dst_sel:DWORD dst_unused:UNUSED_PAD src0_sel:BYTE_0 src1_sel:DWORD
	v_mul_u32_u24_sdwa v25, v143, v95 dst_sel:DWORD dst_unused:UNUSED_PAD src0_sel:WORD_0 src1_sel:DWORD
	ds_write2_b64 v26, v[44:45], v[32:33] offset0:24 offset1:30
	s_waitcnt lgkmcnt(0)
	s_barrier
	v_lshlrev_b32_e32 v24, 4, v24
	v_lshlrev_b32_e32 v25, 4, v25
	buffer_gl0_inv
	s_clause 0x7
	global_load_dwordx4 v[32:35], v24, s[8:9] offset:480
	global_load_dwordx4 v[44:47], v25, s[8:9] offset:480
	;; [unrolled: 1-line block ×8, first 2 shown]
	v_mul_u32_u24_sdwa v26, v138, v66 dst_sel:DWORD dst_unused:UNUSED_PAD src0_sel:WORD_0 src1_sel:DWORD
	s_clause 0x1
	global_load_dwordx4 v[154:157], v24, s[8:9] offset:544
	global_load_dwordx4 v[158:161], v25, s[8:9] offset:544
	v_mul_u32_u24_sdwa v24, v139, v66 dst_sel:DWORD dst_unused:UNUSED_PAD src0_sel:WORD_0 src1_sel:DWORD
	ds_read2_b64 v[84:87], v94 offset0:64 offset1:208
	v_lshrrev_b32_e32 v147, 21, v26
	v_lshlrev_b32_sdwa v144, v140, v144 dst_sel:DWORD dst_unused:UNUSED_PAD src0_sel:DWORD src1_sel:BYTE_0
	v_lshrrev_b32_e32 v148, 21, v24
	v_mul_lo_u16 v25, v147, 36
	v_mul_lo_u16 v24, v148, 36
	v_sub_nc_u16 v149, v138, v25
	v_sub_nc_u16 v146, v139, v24
	v_mul_u32_u24_sdwa v25, v149, v95 dst_sel:DWORD dst_unused:UNUSED_PAD src0_sel:WORD_0 src1_sel:DWORD
	v_mul_u32_u24_sdwa v24, v146, v95 dst_sel:DWORD dst_unused:UNUSED_PAD src0_sel:WORD_0 src1_sel:DWORD
	v_lshlrev_b32_sdwa v146, v140, v146 dst_sel:DWORD dst_unused:UNUSED_PAD src0_sel:DWORD src1_sel:WORD_0
	v_lshlrev_b32_e32 v96, 4, v25
	v_lshlrev_b32_e32 v97, 4, v24
	s_clause 0x3
	global_load_dwordx4 v[162:165], v96, s[8:9] offset:480
	global_load_dwordx4 v[68:71], v97, s[8:9] offset:480
	;; [unrolled: 1-line block ×4, first 2 shown]
	ds_read2_b64 v[92:95], v134 offset1:144
	s_clause 0x1
	global_load_dwordx4 v[36:39], v96, s[8:9] offset:512
	global_load_dwordx4 v[24:27], v96, s[8:9] offset:528
	s_waitcnt vmcnt(15) lgkmcnt(1)
	v_mul_f64 v[76:77], v[84:85], v[34:35]
	v_mul_f64 v[34:35], v[40:41], v[34:35]
	s_waitcnt vmcnt(14)
	v_mul_f64 v[80:81], v[86:87], v[46:47]
	v_mul_f64 v[46:47], v[42:43], v[46:47]
	v_fma_f64 v[82:83], v[40:41], v[32:33], -v[76:77]
	v_fma_f64 v[78:79], v[84:85], v[32:33], v[34:35]
	global_load_dwordx4 v[32:35], v97, s[8:9] offset:528
	s_waitcnt vmcnt(14) lgkmcnt(0)
	v_mul_f64 v[84:85], v[92:93], v[50:51]
	v_mul_f64 v[50:51], v[72:73], v[50:51]
	v_fma_f64 v[80:81], v[42:43], v[44:45], -v[80:81]
	v_fma_f64 v[76:77], v[86:87], v[44:45], v[46:47]
	s_clause 0x1
	global_load_dwordx4 v[40:43], v97, s[8:9] offset:512
	global_load_dwordx4 v[44:47], v96, s[8:9] offset:544
	v_fma_f64 v[100:101], v[72:73], v[48:49], -v[84:85]
	v_fma_f64 v[84:85], v[92:93], v[48:49], v[50:51]
	global_load_dwordx4 v[48:51], v97, s[8:9] offset:544
	s_waitcnt vmcnt(16)
	v_mul_f64 v[72:73], v[94:95], v[104:105]
	v_fma_f64 v[98:99], v[74:75], v[102:103], -v[72:73]
	v_mul_f64 v[72:73], v[74:75], v[104:105]
	v_fma_f64 v[86:87], v[94:95], v[102:103], v[72:73]
	ds_read2_b64 v[72:75], v128 offset0:64 offset1:208
	s_waitcnt vmcnt(15)
	v_mul_f64 v[94:95], v[88:89], v[113:114]
	s_waitcnt lgkmcnt(0)
	v_mul_f64 v[92:93], v[72:73], v[113:114]
	s_waitcnt vmcnt(14)
	v_mul_f64 v[96:97], v[74:75], v[119:120]
	v_fma_f64 v[115:116], v[88:89], v[111:112], -v[92:93]
	v_fma_f64 v[88:89], v[72:73], v[111:112], v[94:95]
	v_mul_f64 v[72:73], v[90:91], v[119:120]
	v_fma_f64 v[113:114], v[90:91], v[117:118], -v[96:97]
	ds_read2_b64 v[94:97], v137 offset1:144
	s_waitcnt vmcnt(13) lgkmcnt(0)
	v_mul_f64 v[90:91], v[94:95], v[123:124]
	v_fma_f64 v[92:93], v[74:75], v[117:118], v[72:73]
	s_waitcnt vmcnt(12)
	v_mul_f64 v[74:75], v[96:97], v[152:153]
	v_mul_f64 v[72:73], v[60:61], v[123:124]
	ds_read2_b64 v[123:126], v132 offset0:64 offset1:208
	v_fma_f64 v[106:107], v[60:61], v[121:122], -v[90:91]
	v_mul_f64 v[60:61], v[62:63], v[152:153]
	s_waitcnt vmcnt(11) lgkmcnt(0)
	v_mul_f64 v[102:103], v[123:124], v[156:157]
	v_fma_f64 v[104:105], v[62:63], v[150:151], -v[74:75]
	v_mul_f64 v[62:63], v[56:57], v[156:157]
	s_waitcnt vmcnt(10)
	v_mul_f64 v[111:112], v[125:126], v[160:161]
	v_fma_f64 v[90:91], v[94:95], v[121:122], v[72:73]
	ds_read2_b64 v[72:75], v131 offset0:96 offset1:240
	v_mul_f64 v[121:122], v[58:59], v[160:161]
	v_fma_f64 v[94:95], v[96:97], v[150:151], v[60:61]
	v_fma_f64 v[117:118], v[56:57], v[154:155], -v[102:103]
	v_fma_f64 v[96:97], v[123:124], v[154:155], v[62:63]
	ds_read2_b64 v[60:63], v136 offset0:32 offset1:176
	s_waitcnt vmcnt(9) lgkmcnt(1)
	v_mul_f64 v[56:57], v[72:73], v[164:165]
	v_fma_f64 v[119:120], v[58:59], v[158:159], -v[111:112]
	v_mul_f64 v[58:59], v[52:53], v[164:165]
	s_waitcnt vmcnt(8)
	v_mul_f64 v[150:151], v[74:75], v[70:71]
	v_fma_f64 v[102:103], v[125:126], v[158:159], v[121:122]
	v_mul_f64 v[125:126], v[54:55], v[70:71]
	s_waitcnt vmcnt(7)
	v_mul_f64 v[121:122], v[20:21], v[66:67]
	v_add_nc_u32_e32 v154, 0xffffffb8, v110
	s_waitcnt lgkmcnt(0)
	v_mul_f64 v[111:112], v[60:61], v[66:67]
	s_waitcnt vmcnt(6)
	v_mul_f64 v[123:124], v[62:63], v[30:31]
	v_mul_f64 v[30:31], v[22:23], v[30:31]
	v_fma_f64 v[70:71], v[52:53], v[162:163], -v[56:57]
	v_fma_f64 v[66:67], v[72:73], v[162:163], v[58:59]
	ds_read2_b64 v[56:59], v135 offset0:96 offset1:240
	v_fma_f64 v[72:73], v[54:55], v[68:69], -v[150:151]
	ds_read2_b64 v[52:55], v129 offset0:32 offset1:176
	v_mov_b32_e32 v150, 0x6c0
	v_fma_f64 v[68:69], v[74:75], v[68:69], v[125:126]
	s_waitcnt vmcnt(5)
	v_mul_f64 v[74:75], v[12:13], v[38:39]
	v_mul_u32_u24_e32 v126, 3, v110
	v_lshl_add_u32 v125, v110, 3, 0
	v_mul_u32_u24_sdwa v145, v145, v150 dst_sel:DWORD dst_unused:UNUSED_PAD src0_sel:WORD_0 src1_sel:DWORD
	ds_read2_b64 v[150:153], v133 offset0:96 offset1:240
	v_fma_f64 v[20:21], v[20:21], v[64:65], -v[111:112]
	v_fma_f64 v[64:65], v[60:61], v[64:65], v[121:122]
	v_fma_f64 v[22:23], v[22:23], v[28:29], -v[123:124]
	v_fma_f64 v[28:29], v[62:63], v[28:29], v[30:31]
	s_waitcnt lgkmcnt(2)
	v_mul_f64 v[60:61], v[56:57], v[38:39]
	v_cndmask_b32_e64 v38, v154, v141, s0
	s_waitcnt vmcnt(4) lgkmcnt(1)
	v_mul_f64 v[121:122], v[52:53], v[26:27]
	v_lshlrev_b32_e32 v39, 4, v126
	v_mul_u32_u24_e32 v126, 0x6c0, v142
	v_lshlrev_b32_sdwa v141, v140, v143 dst_sel:DWORD dst_unused:UNUSED_PAD src0_sel:DWORD src1_sel:WORD_0
	v_mul_f64 v[26:27], v[16:17], v[26:27]
	v_add3_u32 v111, 0, v145, v144
	v_mul_u32_u24_e32 v143, 0x6c0, v147
	v_mul_u32_u24_e32 v144, 0x6c0, v148
	v_add3_u32 v126, 0, v126, v141
	v_lshlrev_b32_sdwa v145, v140, v149 dst_sel:DWORD dst_unused:UNUSED_PAD src0_sel:DWORD src1_sel:WORD_0
	v_mov_b32_e32 v112, 0
	v_add3_u32 v156, 0, v144, v146
	v_add3_u32 v155, 0, v143, v145
	v_add_f64 v[143:144], v[113:114], v[119:120]
	v_fma_f64 v[141:142], v[12:13], v[36:37], -v[60:61]
	v_fma_f64 v[36:37], v[56:57], v[36:37], v[74:75]
	v_fma_f64 v[56:57], v[16:17], v[24:25], -v[121:122]
	v_add_co_u32 v60, s0, s8, v39
	v_add_co_ci_u32_e64 v61, null, s9, 0, s0
	v_fma_f64 v[24:25], v[52:53], v[24:25], v[26:27]
	v_add_f64 v[145:146], v[70:71], v[141:142]
	s_waitcnt vmcnt(3)
	v_mul_f64 v[123:124], v[54:55], v[34:35]
	v_mul_f64 v[34:35], v[18:19], v[34:35]
	s_waitcnt vmcnt(2)
	v_mul_f64 v[30:31], v[58:59], v[42:43]
	v_mul_f64 v[42:43], v[14:15], v[42:43]
	s_waitcnt vmcnt(1) lgkmcnt(0)
	v_mul_f64 v[62:63], v[150:151], v[46:47]
	v_mul_f64 v[46:47], v[8:9], v[46:47]
	v_fma_f64 v[74:75], v[18:19], v[32:33], -v[123:124]
	v_fma_f64 v[26:27], v[54:55], v[32:33], v[34:35]
	v_add_f64 v[32:33], v[100:101], v[106:107]
	s_waitcnt vmcnt(0)
	v_mul_f64 v[121:122], v[152:153], v[50:51]
	v_mul_f64 v[50:51], v[10:11], v[50:51]
	v_fma_f64 v[30:31], v[14:15], v[40:41], -v[30:31]
	v_fma_f64 v[39:40], v[58:59], v[40:41], v[42:43]
	v_fma_f64 v[8:9], v[8:9], v[44:45], -v[62:63]
	v_add_f64 v[34:35], v[98:99], v[104:105]
	v_fma_f64 v[41:42], v[150:151], v[44:45], v[46:47]
	v_add_f64 v[45:46], v[20:21], v[56:57]
	v_add_f64 v[53:54], v[0:1], v[100:101]
	v_add_f64 v[58:59], v[115:116], -v[117:118]
	v_add_f64 v[62:63], v[88:89], v[96:97]
	v_add_f64 v[149:150], v[4:5], v[20:21]
	ds_read2_b64 v[12:15], v127 offset1:144
	ds_read2_b64 v[16:19], v130 offset0:32 offset1:176
	v_add_f64 v[100:101], v[100:101], -v[106:107]
	v_add_f64 v[20:21], v[20:21], -v[56:57]
	v_add_co_u32 v123, s0, 0x800, v60
	v_add_co_ci_u32_e64 v124, s0, 0, v61, s0
	s_waitcnt lgkmcnt(0)
	v_fma_f64 v[0:1], v[32:33], -0.5, v[0:1]
	v_fma_f64 v[10:11], v[10:11], v[48:49], -v[121:122]
	v_fma_f64 v[43:44], v[152:153], v[48:49], v[50:51]
	v_add_f64 v[47:48], v[22:23], v[74:75]
	v_add_f64 v[49:50], v[82:83], v[115:116]
	v_add_f64 v[51:52], v[115:116], v[117:118]
	v_add_f64 v[115:116], v[80:81], v[113:114]
	v_add_f64 v[121:122], v[2:3], v[98:99]
	v_add_f64 v[147:148], v[141:142], v[8:9]
	v_add_f64 v[151:152], v[6:7], v[22:23]
	v_add_f64 v[153:154], v[92:93], v[102:103]
	v_fma_f64 v[2:3], v[34:35], -0.5, v[2:3]
	v_add_f64 v[32:33], v[72:73], v[30:31]
	v_fma_f64 v[4:5], v[45:46], -0.5, v[4:5]
	v_add_f64 v[45:46], v[36:37], v[41:42]
	v_add_f64 v[113:114], v[113:114], -v[119:120]
	v_add_f64 v[141:142], v[141:142], -v[8:9]
	;; [unrolled: 1-line block ×3, first 2 shown]
	v_add_f64 v[53:54], v[53:54], v[106:107]
	v_add_f64 v[106:107], v[84:85], v[90:91]
	v_fma_f64 v[62:63], v[62:63], -0.5, v[78:79]
	v_fma_f64 v[80:81], v[143:144], -0.5, v[80:81]
	v_add_f64 v[143:144], v[16:17], v[64:65]
	v_add_f64 v[34:35], v[30:31], v[10:11]
	v_add_f64 v[30:31], v[30:31], -v[10:11]
	v_fma_f64 v[6:7], v[47:48], -0.5, v[6:7]
	v_add_f64 v[47:48], v[39:40], v[43:44]
	v_add_f64 v[49:50], v[49:50], v[117:118]
	;; [unrolled: 1-line block ×3, first 2 shown]
	v_fma_f64 v[51:52], v[51:52], -0.5, v[82:83]
	v_add_f64 v[82:83], v[12:13], v[84:85]
	v_add_f64 v[115:116], v[115:116], v[119:120]
	;; [unrolled: 1-line block ×8, first 2 shown]
	v_fma_f64 v[70:71], v[147:148], -0.5, v[70:71]
	v_add_f64 v[55:56], v[149:150], v[56:57]
	v_add_f64 v[149:150], v[76:77], v[92:93]
	;; [unrolled: 1-line block ×4, first 2 shown]
	v_add_f64 v[88:89], v[88:89], -v[96:97]
	v_add_f64 v[84:85], v[84:85], -v[90:91]
	v_fma_f64 v[34:35], v[34:35], -0.5, v[72:73]
	v_add_f64 v[72:73], v[68:69], v[39:40]
	v_add_f64 v[92:93], v[92:93], -v[102:103]
	v_add_f64 v[86:87], v[86:87], -v[94:95]
	;; [unrolled: 1-line block ×5, first 2 shown]
	v_fma_f64 v[76:77], v[153:154], -0.5, v[76:77]
	v_fma_f64 v[45:46], v[45:46], -0.5, v[66:67]
	;; [unrolled: 1-line block ×3, first 2 shown]
	v_add_f64 v[147:148], v[18:19], v[28:29]
	v_add_f64 v[28:29], v[28:29], -v[26:27]
	v_add_f64 v[22:23], v[22:23], -v[74:75]
	v_add_f64 v[74:75], v[151:152], v[74:75]
	v_add_f64 v[66:67], v[82:83], v[90:91]
	;; [unrolled: 1-line block ×3, first 2 shown]
	v_fma_f64 v[12:13], v[106:107], -0.5, v[12:13]
	v_fma_f64 v[14:15], v[119:120], -0.5, v[14:15]
	;; [unrolled: 1-line block ×4, first 2 shown]
	v_add_f64 v[78:79], v[78:79], v[94:95]
	v_add_f64 v[82:83], v[149:150], v[102:103]
	;; [unrolled: 1-line block ×4, first 2 shown]
	v_fma_f64 v[43:44], v[58:59], s[4:5], v[62:63]
	v_fma_f64 v[72:73], v[88:89], s[6:7], v[51:52]
	;; [unrolled: 1-line block ×3, first 2 shown]
	v_add_f64 v[94:95], v[53:54], v[49:50]
	v_fma_f64 v[51:52], v[88:89], s[4:5], v[51:52]
	v_fma_f64 v[0:1], v[84:85], s[4:5], v[0:1]
	;; [unrolled: 1-line block ×3, first 2 shown]
	v_add_f64 v[49:50], v[53:54], -v[49:50]
	v_fma_f64 v[53:54], v[113:114], s[4:5], v[76:77]
	v_fma_f64 v[62:63], v[92:93], s[6:7], v[80:81]
	;; [unrolled: 1-line block ×3, first 2 shown]
	v_add_f64 v[88:89], v[104:105], v[115:116]
	v_fma_f64 v[80:81], v[92:93], s[4:5], v[80:81]
	v_fma_f64 v[2:3], v[86:87], s[4:5], v[2:3]
	v_add_f64 v[86:87], v[104:105], -v[115:116]
	v_fma_f64 v[92:93], v[141:142], s[4:5], v[45:46]
	v_fma_f64 v[96:97], v[36:37], s[6:7], v[70:71]
	;; [unrolled: 1-line block ×3, first 2 shown]
	v_add_f64 v[104:105], v[55:56], v[8:9]
	v_fma_f64 v[36:37], v[36:37], s[4:5], v[70:71]
	v_fma_f64 v[4:5], v[64:65], s[4:5], v[4:5]
	v_add_f64 v[8:9], v[55:56], -v[8:9]
	v_fma_f64 v[55:56], v[30:31], s[4:5], v[47:48]
	v_fma_f64 v[64:65], v[39:40], s[6:7], v[34:35]
	;; [unrolled: 1-line block ×8, first 2 shown]
	v_add_f64 v[24:25], v[143:144], v[24:25]
	v_add_f64 v[26:27], v[147:148], v[26:27]
	;; [unrolled: 1-line block ×3, first 2 shown]
	v_add_f64 v[10:11], v[74:75], -v[10:11]
	v_fma_f64 v[30:31], v[100:101], s[4:5], v[12:13]
	v_add_f64 v[74:75], v[66:67], v[68:69]
	v_fma_f64 v[12:13], v[100:101], s[6:7], v[12:13]
	v_add_f64 v[66:67], v[66:67], -v[68:69]
	v_mul_f64 v[47:48], v[43:44], s[6:7]
	v_mul_f64 v[68:69], v[51:52], -0.5
	v_fma_f64 v[100:101], v[98:99], s[4:5], v[14:15]
	v_fma_f64 v[14:15], v[98:99], s[6:7], v[14:15]
	v_mul_f64 v[98:99], v[53:54], s[6:7]
	v_fma_f64 v[113:114], v[20:21], s[4:5], v[16:17]
	v_fma_f64 v[16:17], v[20:21], s[6:7], v[16:17]
	v_mul_f64 v[20:21], v[92:93], s[6:7]
	v_mul_f64 v[115:116], v[36:37], -0.5
	v_fma_f64 v[117:118], v[22:23], s[4:5], v[18:19]
	v_fma_f64 v[18:19], v[22:23], s[6:7], v[18:19]
	v_mul_f64 v[22:23], v[55:56], s[6:7]
	v_mul_f64 v[119:120], v[34:35], -0.5
	v_mul_f64 v[121:122], v[72:73], s[4:5]
	v_mul_f64 v[141:142], v[57:58], -0.5
	v_mul_f64 v[106:107], v[80:81], -0.5
	v_mul_f64 v[143:144], v[62:63], s[4:5]
	v_mul_f64 v[145:146], v[76:77], -0.5
	v_mul_f64 v[147:148], v[96:97], s[4:5]
	;; [unrolled: 2-line block ×3, first 2 shown]
	v_mul_f64 v[153:154], v[28:29], -0.5
	v_fma_f64 v[47:48], v[72:73], 0.5, v[47:48]
	v_fma_f64 v[57:58], v[57:58], s[6:7], v[68:69]
	v_add_f64 v[68:69], v[78:79], v[82:83]
	v_add_f64 v[72:73], v[78:79], -v[82:83]
	v_fma_f64 v[62:63], v[62:63], 0.5, v[98:99]
	v_add_f64 v[78:79], v[24:25], v[32:33]
	v_add_f64 v[82:83], v[24:25], -v[32:33]
	v_fma_f64 v[20:21], v[96:97], 0.5, v[20:21]
	v_fma_f64 v[24:25], v[45:46], s[6:7], v[115:116]
	v_add_f64 v[96:97], v[26:27], v[41:42]
	v_add_f64 v[98:99], v[26:27], -v[41:42]
	v_fma_f64 v[22:23], v[64:65], 0.5, v[22:23]
	v_fma_f64 v[26:27], v[28:29], s[6:7], v[119:120]
	v_fma_f64 v[28:29], v[43:44], 0.5, v[121:122]
	v_fma_f64 v[32:33], v[51:52], s[4:5], v[141:142]
	v_fma_f64 v[76:77], v[76:77], s[6:7], v[106:107]
	v_fma_f64 v[41:42], v[53:54], 0.5, v[143:144]
	v_fma_f64 v[43:44], v[80:81], s[4:5], v[145:146]
	v_fma_f64 v[45:46], v[92:93], 0.5, v[147:148]
	;; [unrolled: 2-line block ×3, first 2 shown]
	v_fma_f64 v[34:35], v[34:35], s[4:5], v[153:154]
	v_add_f64 v[53:54], v[90:91], v[47:48]
	v_add_f64 v[55:56], v[0:1], v[57:58]
	v_add_f64 v[47:48], v[90:91], -v[47:48]
	v_add_f64 v[0:1], v[0:1], -v[57:58]
	v_add_f64 v[57:58], v[84:85], v[62:63]
	v_add_f64 v[62:63], v[84:85], -v[62:63]
	s_barrier
	buffer_gl0_inv
	v_add_f64 v[80:81], v[4:5], v[24:25]
	v_add_f64 v[4:5], v[4:5], -v[24:25]
	v_add_f64 v[24:25], v[70:71], v[22:23]
	v_add_f64 v[22:23], v[70:71], -v[22:23]
	v_add_f64 v[70:71], v[30:31], v[28:29]
	v_add_f64 v[90:91], v[12:13], v[32:33]
	v_add_f64 v[64:65], v[2:3], v[76:77]
	v_add_f64 v[2:3], v[2:3], -v[76:77]
	v_add_f64 v[76:77], v[102:103], v[20:21]
	v_add_f64 v[20:21], v[102:103], -v[20:21]
	v_add_f64 v[92:93], v[30:31], -v[28:29]
	;; [unrolled: 1-line block ×3, first 2 shown]
	v_add_f64 v[106:107], v[100:101], v[41:42]
	v_add_f64 v[115:116], v[14:15], v[43:44]
	v_add_f64 v[100:101], v[100:101], -v[41:42]
	v_add_f64 v[119:120], v[14:15], -v[43:44]
	v_add_f64 v[121:122], v[113:114], v[45:46]
	v_add_f64 v[141:142], v[16:17], v[36:37]
	v_add_f64 v[113:114], v[113:114], -v[45:46]
	v_add_f64 v[36:37], v[16:17], -v[36:37]
	v_add_f64 v[143:144], v[117:118], v[51:52]
	v_add_f64 v[84:85], v[6:7], v[26:27]
	v_add_f64 v[51:52], v[117:118], -v[51:52]
	v_add_f64 v[117:118], v[18:19], v[34:35]
	v_add_f64 v[6:7], v[6:7], -v[26:27]
	v_add_f64 v[145:146], v[18:19], -v[34:35]
	ds_write2_b64 v111, v[94:95], v[53:54] offset1:36
	ds_write2_b64 v111, v[55:56], v[49:50] offset0:72 offset1:108
	ds_write2_b64 v111, v[47:48], v[0:1] offset0:144 offset1:180
	ds_write2_b64 v126, v[88:89], v[57:58] offset1:36
	ds_write2_b64 v126, v[64:65], v[86:87] offset0:72 offset1:108
	ds_write2_b64 v126, v[62:63], v[2:3] offset0:144 offset1:180
	;; [unrolled: 3-line block ×4, first 2 shown]
	s_waitcnt lgkmcnt(0)
	s_barrier
	buffer_gl0_inv
	ds_read_b64 v[30:31], v127 offset:4608
	ds_read_b64 v[28:29], v125 offset:5760
	ds_read2_b64 v[4:7], v127 offset1:144
	ds_read2_b64 v[32:35], v131 offset0:96 offset1:240
	ds_read2_b64 v[39:42], v128 offset0:64 offset1:208
	ds_read2_b64 v[43:46], v129 offset0:32 offset1:176
	ds_read2_b64 v[0:3], v130 offset0:32 offset1:176
	ds_read2_b64 v[47:50], v134 offset1:144
	ds_read2_b64 v[12:15], v135 offset0:96 offset1:240
	ds_read2_b64 v[24:27], v132 offset0:64 offset1:208
	;; [unrolled: 1-line block ×3, first 2 shown]
	ds_read2_b64 v[8:11], v137 offset1:144
	ds_read2_b64 v[16:19], v133 offset0:96 offset1:240
	s_waitcnt lgkmcnt(0)
	s_barrier
	buffer_gl0_inv
	ds_write2_b64 v111, v[74:75], v[70:71] offset1:36
	ds_write2_b64 v111, v[90:91], v[66:67] offset0:72 offset1:108
	ds_write2_b64 v111, v[92:93], v[102:103] offset0:144 offset1:180
	ds_write2_b64 v126, v[68:69], v[106:107] offset1:36
	ds_write2_b64 v126, v[115:116], v[72:73] offset0:72 offset1:108
	ds_write2_b64 v126, v[100:101], v[119:120] offset0:144 offset1:180
	;; [unrolled: 3-line block ×4, first 2 shown]
	v_mul_i32_i24_e32 v111, 3, v38
	s_waitcnt lgkmcnt(0)
	s_barrier
	buffer_gl0_inv
	global_load_dwordx4 v[51:54], v[123:124], off offset:1312
	v_lshlrev_b64 v[36:37], 4, v[111:112]
	v_lshrrev_b16 v70, 3, v139
	v_add_nc_u32_e32 v119, 0x2d0, v110
	v_add_nc_u32_e32 v120, 0x240, v110
	v_lshlrev_b32_e32 v38, 3, v38
	v_add_co_u32 v59, s0, s8, v36
	v_add_co_ci_u32_e64 v66, s0, s9, v37, s0
	v_lshrrev_b16 v76, 3, v119
	v_add_co_u32 v36, s0, 0x800, v59
	v_add_co_ci_u32_e64 v37, s0, 0, v66, s0
	v_lshrrev_b16 v78, 3, v120
	global_load_dwordx4 v[55:58], v[36:37], off offset:1312
	v_add_co_u32 v36, s0, 0xd20, v60
	v_add_co_ci_u32_e64 v37, s0, 0, v61, s0
	v_add_co_u32 v74, s0, 0xd20, v59
	v_mov_b32_e32 v59, 0x12f7
	global_load_dwordx4 v[62:65], v[36:37], off offset:16
	v_add_co_ci_u32_e64 v75, s0, 0, v66, s0
	v_mul_u32_u24_sdwa v70, v70, v59 dst_sel:DWORD dst_unused:UNUSED_PAD src0_sel:WORD_0 src1_sel:DWORD
	global_load_dwordx4 v[66:69], v[74:75], off offset:16
	v_lshrrev_b32_e32 v70, 17, v70
	v_mul_lo_u16 v77, 0xd8, v70
	global_load_dwordx4 v[70:73], v[36:37], off offset:32
	v_mul_u32_u24_sdwa v36, v76, v59 dst_sel:DWORD dst_unused:UNUSED_PAD src0_sel:WORD_0 src1_sel:DWORD
	v_mul_u32_u24_sdwa v59, v78, v59 dst_sel:DWORD dst_unused:UNUSED_PAD src0_sel:WORD_0 src1_sel:DWORD
	v_sub_nc_u16 v37, v139, v77
	v_lshrrev_b32_e32 v36, 17, v36
	v_lshrrev_b32_e32 v59, 17, v59
	v_and_b32_e32 v111, 0xffff, v37
	v_mul_lo_u16 v78, 0xd8, v36
	v_add_co_u32 v36, s0, 0x1800, v60
	v_mul_u32_u24_e32 v79, 3, v111
	v_add_co_ci_u32_e64 v37, s0, 0, v61, s0
	v_mul_lo_u16 v83, 0xd8, v59
	v_sub_nc_u16 v84, v119, v78
	v_lshlrev_b32_e32 v82, 4, v79
	global_load_dwordx4 v[78:81], v[36:37], off offset:672
	v_sub_nc_u16 v126, v120, v83
	v_and_b32_e32 v157, 0xffff, v84
	v_add_co_u32 v90, s0, s8, v82
	v_add_co_ci_u32_e64 v91, null, s9, 0, s0
	v_mul_u32_u24_sdwa v86, v126, v140 dst_sel:DWORD dst_unused:UNUSED_PAD src0_sel:WORD_0 src1_sel:DWORD
	v_add_co_u32 v36, s0, 0x800, v90
	v_add_co_ci_u32_e64 v37, s0, 0, v91, s0
	v_mul_u32_u24_e32 v87, 3, v157
	v_lshlrev_b32_e32 v92, 4, v86
	global_load_dwordx4 v[82:85], v[36:37], off offset:1312
	v_add_co_u32 v36, s0, 0x1aa0, v60
	v_add_co_ci_u32_e64 v37, s0, 0, v61, s0
	v_lshlrev_b32_e32 v96, 4, v87
	v_add_co_u32 v102, s0, s8, v92
	s_clause 0x1
	global_load_dwordx4 v[86:89], v[36:37], off offset:32
	global_load_dwordx4 v[74:77], v[74:75], off offset:32
	v_add_co_ci_u32_e64 v103, null, s9, 0, s0
	v_add_co_u32 v106, s0, 0xd20, v90
	v_add_co_ci_u32_e64 v107, s0, 0, v91, s0
	v_add_co_u32 v94, s0, 0x800, v102
	v_add_co_ci_u32_e64 v95, s0, 0, v103, s0
	global_load_dwordx4 v[90:93], v[106:107], off offset:32
	v_add_co_u32 v113, s0, s8, v96
	v_add_co_ci_u32_e64 v114, null, s9, 0, s0
	global_load_dwordx4 v[94:97], v[94:95], off offset:1312
	v_add_co_u32 v98, s0, 0x800, v113
	v_add_co_ci_u32_e64 v99, s0, 0, v114, s0
	v_add_co_u32 v117, s0, 0xd20, v102
	v_add_co_ci_u32_e64 v118, s0, 0, v103, s0
	global_load_dwordx4 v[98:101], v[98:99], off offset:1312
	v_add_co_u32 v149, s0, 0xd20, v113
	v_add_co_ci_u32_e64 v150, s0, 0, v114, s0
	s_clause 0x5
	global_load_dwordx4 v[102:105], v[117:118], off offset:32
	global_load_dwordx4 v[113:116], v[149:150], off offset:32
	;; [unrolled: 1-line block ×6, first 2 shown]
	ds_read2_b64 v[153:156], v131 offset0:96 offset1:240
	v_cmp_lt_u32_e64 s0, 0x47, v110
	s_waitcnt vmcnt(17) lgkmcnt(0)
	v_mul_f64 v[36:37], v[153:154], v[53:54]
	v_mul_f64 v[53:54], v[32:33], v[53:54]
	v_fma_f64 v[36:37], v[32:33], v[51:52], -v[36:37]
	s_waitcnt vmcnt(16)
	v_mul_f64 v[32:33], v[155:156], v[57:58]
	v_fma_f64 v[106:107], v[153:154], v[51:52], v[53:54]
	v_mul_f64 v[51:52], v[34:35], v[57:58]
	v_add_nc_u32_e32 v153, 0x1d00, v125
	s_waitcnt vmcnt(15)
	v_mul_f64 v[53:54], v[39:40], v[64:65]
	v_add_nc_u32_e32 v154, 0x2a00, v125
	v_fma_f64 v[57:58], v[34:35], v[55:56], -v[32:33]
	ds_read2_b64 v[32:35], v128 offset0:64 offset1:208
	v_fma_f64 v[55:56], v[155:156], v[55:56], v[51:52]
	v_add_nc_u32_e32 v155, 0xd00, v127
	s_waitcnt lgkmcnt(0)
	v_mul_f64 v[51:52], v[32:33], v[64:65]
	s_waitcnt vmcnt(14)
	v_mul_f64 v[64:65], v[34:35], v[68:69]
	v_fma_f64 v[117:118], v[39:40], v[62:63], -v[51:52]
	v_fma_f64 v[62:63], v[32:33], v[62:63], v[53:54]
	ds_read2_b64 v[51:54], v129 offset0:32 offset1:176
	v_mul_f64 v[32:33], v[41:42], v[68:69]
	v_fma_f64 v[64:65], v[41:42], v[66:67], -v[64:65]
	s_waitcnt vmcnt(13)
	v_mul_f64 v[41:42], v[43:44], v[72:73]
	s_waitcnt lgkmcnt(0)
	v_mul_f64 v[39:40], v[51:52], v[72:73]
	s_waitcnt vmcnt(9)
	v_mul_f64 v[72:73], v[45:46], v[76:77]
	v_mul_f64 v[68:69], v[53:54], v[76:77]
	v_fma_f64 v[66:67], v[34:35], v[66:67], v[32:33]
	ds_read2_b64 v[32:35], v134 offset1:144
	v_fma_f64 v[51:52], v[51:52], v[70:71], v[41:42]
	v_add_f64 v[64:65], v[6:7], -v[64:65]
	v_fma_f64 v[76:77], v[43:44], v[70:71], -v[39:40]
	ds_read2_b64 v[39:42], v132 offset0:64 offset1:208
	s_waitcnt lgkmcnt(1)
	v_mul_f64 v[70:71], v[32:33], v[80:81]
	v_mul_f64 v[80:81], v[47:48], v[80:81]
	v_fma_f64 v[53:54], v[53:54], v[74:75], v[72:73]
	v_mul_f64 v[72:73], v[34:35], v[84:85]
	v_fma_f64 v[68:69], v[45:46], v[74:75], -v[68:69]
	v_mul_f64 v[74:75], v[49:50], v[84:85]
	ds_read2_b64 v[43:46], v136 offset0:32 offset1:176
	s_waitcnt vmcnt(8)
	v_mul_f64 v[84:85], v[26:27], v[92:93]
	v_add_f64 v[51:52], v[106:107], -v[51:52]
	v_fma_f64 v[6:7], v[6:7], 2.0, -v[64:65]
	v_add_f64 v[76:77], v[36:37], -v[76:77]
	v_fma_f64 v[47:48], v[47:48], v[78:79], -v[70:71]
	v_fma_f64 v[70:71], v[32:33], v[78:79], v[80:81]
	s_waitcnt lgkmcnt(1)
	v_mul_f64 v[78:79], v[39:40], v[88:89]
	v_mul_f64 v[80:81], v[24:25], v[88:89]
	v_fma_f64 v[49:50], v[49:50], v[82:83], -v[72:73]
	v_mul_f64 v[72:73], v[41:42], v[92:93]
	s_waitcnt vmcnt(7)
	v_mul_f64 v[88:89], v[20:21], v[96:97]
	v_fma_f64 v[74:75], v[34:35], v[82:83], v[74:75]
	s_waitcnt lgkmcnt(0)
	v_mul_f64 v[82:83], v[43:44], v[96:97]
	ds_read2_b64 v[32:35], v133 offset0:96 offset1:240
	s_waitcnt vmcnt(6)
	v_mul_f64 v[92:93], v[22:23], v[100:101]
	v_fma_f64 v[84:85], v[41:42], v[90:91], v[84:85]
	s_waitcnt vmcnt(5)
	v_mul_f64 v[96:97], v[16:17], v[104:105]
	v_add_f64 v[68:69], v[57:58], -v[68:69]
	v_add_f64 v[53:54], v[55:56], -v[53:54]
	v_fma_f64 v[36:37], v[36:37], 2.0, -v[76:77]
	v_fma_f64 v[78:79], v[24:25], v[86:87], -v[78:79]
	v_fma_f64 v[80:81], v[39:40], v[86:87], v[80:81]
	v_mul_f64 v[86:87], v[45:46], v[100:101]
	v_fma_f64 v[72:73], v[26:27], v[90:91], -v[72:73]
	ds_read2_b64 v[24:27], v135 offset0:96 offset1:240
	ds_read2_b64 v[39:42], v137 offset1:144
	v_fma_f64 v[43:44], v[43:44], v[94:95], v[88:89]
	v_cndmask_b32_e64 v88, 0, 0x1b00, s0
	s_waitcnt lgkmcnt(2)
	v_mul_f64 v[90:91], v[32:33], v[104:105]
	v_fma_f64 v[20:21], v[20:21], v[94:95], -v[82:83]
	s_waitcnt vmcnt(4)
	v_mul_f64 v[82:83], v[34:35], v[115:116]
	v_fma_f64 v[45:46], v[45:46], v[98:99], v[92:93]
	v_add3_u32 v156, 0, v88, v38
	s_waitcnt vmcnt(3)
	v_mul_f64 v[100:101], v[12:13], v[123:124]
	v_fma_f64 v[32:33], v[32:33], v[102:103], v[96:97]
	s_waitcnt vmcnt(1)
	v_mul_f64 v[96:97], v[8:9], v[147:148]
	v_mul_u32_u24_e32 v38, 0x1b00, v59
	v_lshlrev_b32_sdwa v59, v140, v126 dst_sel:DWORD dst_unused:UNUSED_PAD src0_sel:DWORD src1_sel:WORD_0
	v_add_f64 v[84:85], v[74:75], -v[84:85]
	v_fma_f64 v[57:58], v[57:58], 2.0, -v[68:69]
	v_lshl_add_u32 v104, v111, 3, 0
	v_add_nc_u32_e32 v126, 0xd00, v156
	v_add3_u32 v59, 0, v38, v59
	v_lshl_add_u32 v38, v157, 3, 0
	v_fma_f64 v[22:23], v[22:23], v[98:99], -v[86:87]
	v_mul_f64 v[86:87], v[18:19], v[115:116]
	s_waitcnt lgkmcnt(1)
	v_mul_f64 v[88:89], v[24:25], v[123:124]
	v_mul_f64 v[92:93], v[26:27], v[143:144]
	s_waitcnt lgkmcnt(0)
	v_mul_f64 v[94:95], v[39:40], v[147:148]
	s_waitcnt vmcnt(0)
	v_mul_f64 v[98:99], v[41:42], v[151:152]
	v_fma_f64 v[16:17], v[16:17], v[102:103], -v[90:91]
	v_mul_f64 v[90:91], v[14:15], v[143:144]
	v_fma_f64 v[18:19], v[18:19], v[113:114], -v[82:83]
	v_mul_f64 v[82:83], v[10:11], v[151:152]
	v_add_nc_u32_e32 v144, 0x5000, v38
	v_add_nc_u32_e32 v147, 0x5e00, v38
	v_fma_f64 v[24:25], v[24:25], v[121:122], v[100:101]
	v_fma_f64 v[38:39], v[39:40], v[145:146], v[96:97]
	v_add_f64 v[78:79], v[47:48], -v[78:79]
	v_add_f64 v[72:73], v[49:50], -v[72:73]
	;; [unrolled: 1-line block ×5, first 2 shown]
	v_add_nc_u32_e32 v111, 0x3600, v104
	v_add_nc_u32_e32 v140, 0x4300, v104
	;; [unrolled: 1-line block ×3, first 2 shown]
	v_fma_f64 v[34:35], v[34:35], v[113:114], v[86:87]
	v_fma_f64 v[86:87], v[12:13], v[121:122], -v[88:89]
	v_fma_f64 v[88:89], v[14:15], v[141:142], -v[92:93]
	;; [unrolled: 1-line block ×4, first 2 shown]
	ds_read_b64 v[92:93], v127 offset:4608
	ds_read_b64 v[102:103], v125 offset:5760
	ds_read2_b64 v[12:15], v127 offset1:144
	v_fma_f64 v[26:27], v[26:27], v[141:142], v[90:91]
	ds_read2_b64 v[8:11], v130 offset0:32 offset1:176
	v_fma_f64 v[40:41], v[41:42], v[149:150], v[82:83]
	v_add_f64 v[82:83], v[4:5], -v[117:118]
	v_add_f64 v[16:17], v[20:21], -v[16:17]
	;; [unrolled: 1-line block ×3, first 2 shown]
	s_waitcnt lgkmcnt(0)
	v_fma_f64 v[47:48], v[47:48], 2.0, -v[78:79]
	v_fma_f64 v[49:50], v[49:50], 2.0, -v[72:73]
	s_barrier
	buffer_gl0_inv
	v_fma_f64 v[6:7], v[6:7], 2.0, -v[57:58]
	v_add_f64 v[34:35], v[45:46], -v[34:35]
	v_add_f64 v[86:87], v[0:1], -v[86:87]
	;; [unrolled: 1-line block ×10, first 2 shown]
	v_fma_f64 v[4:5], v[4:5], 2.0, -v[82:83]
	v_fma_f64 v[20:21], v[20:21], 2.0, -v[16:17]
	;; [unrolled: 1-line block ×3, first 2 shown]
	v_add_f64 v[40:41], v[102:103], -v[40:41]
	v_add_f64 v[96:97], v[82:83], -v[51:52]
	;; [unrolled: 1-line block ×3, first 2 shown]
	v_fma_f64 v[51:52], v[106:107], 2.0, -v[51:52]
	v_fma_f64 v[53:54], v[55:56], 2.0, -v[53:54]
	;; [unrolled: 1-line block ×8, first 2 shown]
	v_add_f64 v[113:114], v[90:91], -v[32:33]
	v_fma_f64 v[12:13], v[12:13], 2.0, -v[62:63]
	v_fma_f64 v[14:15], v[14:15], 2.0, -v[66:67]
	;; [unrolled: 1-line block ×6, first 2 shown]
	v_add_f64 v[36:37], v[4:5], -v[36:37]
	v_add_f64 v[100:101], v[86:87], -v[80:81]
	v_fma_f64 v[44:45], v[45:46], 2.0, -v[34:35]
	v_add_f64 v[104:105], v[88:89], -v[84:85]
	v_add_f64 v[34:35], v[94:95], -v[34:35]
	v_fma_f64 v[74:75], v[102:103], 2.0, -v[40:41]
	v_add_f64 v[78:79], v[24:25], v[78:79]
	v_add_f64 v[72:73], v[26:27], v[72:73]
	;; [unrolled: 1-line block ×4, first 2 shown]
	v_fma_f64 v[16:17], v[82:83], 2.0, -v[96:97]
	v_add_f64 v[46:47], v[0:1], -v[47:48]
	v_add_f64 v[48:49], v[2:3], -v[49:50]
	;; [unrolled: 1-line block ×4, first 2 shown]
	v_fma_f64 v[18:19], v[64:65], 2.0, -v[98:99]
	v_add_f64 v[50:51], v[12:13], -v[51:52]
	v_add_f64 v[52:53], v[14:15], -v[53:54]
	;; [unrolled: 1-line block ×4, first 2 shown]
	v_add_f64 v[76:77], v[62:63], v[76:77]
	v_add_f64 v[82:83], v[42:43], -v[32:33]
	v_fma_f64 v[4:5], v[4:5], 2.0, -v[36:37]
	v_fma_f64 v[64:65], v[86:87], 2.0, -v[100:101]
	;; [unrolled: 1-line block ×5, first 2 shown]
	v_add_f64 v[68:69], v[66:67], v[68:69]
	v_add_f64 v[44:45], v[74:75], -v[44:45]
	v_fma_f64 v[90:91], v[24:25], 2.0, -v[78:79]
	v_fma_f64 v[92:93], v[26:27], 2.0, -v[72:73]
	;; [unrolled: 1-line block ×8, first 2 shown]
	ds_write2_b64 v155, v[36:37], v[96:97] offset0:16 offset1:232
	v_fma_f64 v[96:97], v[12:13], 2.0, -v[50:51]
	v_fma_f64 v[106:107], v[14:15], 2.0, -v[52:53]
	;; [unrolled: 1-line block ×4, first 2 shown]
	ds_write2_b64 v127, v[4:5], v[16:17] offset1:216
	ds_write2_b64 v156, v[6:7], v[18:19] offset1:216
	ds_write2_b64 v126, v[57:58], v[98:99] offset0:16 offset1:232
	ds_write2_b64 v153, v[0:1], v[64:65] offset0:8 offset1:224
	;; [unrolled: 1-line block ×3, first 2 shown]
	ds_write2_b64 v111, v[2:3], v[32:33] offset1:216
	ds_write2_b64 v140, v[48:49], v[104:105] offset0:16 offset1:232
	ds_write2_b64 v59, v[30:31], v[86:87] offset1:216
	ds_write2_b64 v143, v[20:21], v[113:114] offset0:16 offset1:232
	ds_write2_b64 v144, v[28:29], v[88:89] offset0:32 offset1:248
	;; [unrolled: 1-line block ×3, first 2 shown]
	v_fma_f64 v[123:124], v[42:43], 2.0, -v[82:83]
	s_waitcnt lgkmcnt(0)
	s_barrier
	buffer_gl0_inv
	ds_read2_b64 v[0:3], v127 offset1:144
	ds_read2_b64 v[20:23], v131 offset0:96 offset1:240
	ds_read2_b64 v[16:19], v128 offset0:64 offset1:208
	ds_read_b64 v[113:114], v127 offset:4608
	ds_read_b64 v[115:116], v125 offset:5760
	ds_read2_b64 v[12:15], v129 offset0:32 offset1:176
	ds_read2_b64 v[4:7], v130 offset0:32 offset1:176
	ds_read2_b64 v[28:31], v134 offset1:144
	ds_read2_b64 v[32:35], v135 offset0:96 offset1:240
	ds_read2_b64 v[24:27], v132 offset0:64 offset1:208
	;; [unrolled: 1-line block ×3, first 2 shown]
	ds_read2_b64 v[40:43], v137 offset1:144
	ds_read2_b64 v[8:11], v133 offset0:96 offset1:240
	v_fma_f64 v[62:63], v[62:63], 2.0, -v[76:77]
	v_fma_f64 v[66:67], v[66:67], 2.0, -v[68:69]
	;; [unrolled: 1-line block ×3, first 2 shown]
	s_waitcnt lgkmcnt(0)
	s_barrier
	buffer_gl0_inv
	ds_write2_b64 v155, v[50:51], v[76:77] offset0:16 offset1:232
	ds_write2_b64 v127, v[96:97], v[62:63] offset1:216
	ds_write2_b64 v156, v[106:107], v[66:67] offset1:216
	ds_write2_b64 v126, v[52:53], v[68:69] offset0:16 offset1:232
	ds_write2_b64 v153, v[117:118], v[90:91] offset0:8 offset1:224
	;; [unrolled: 1-line block ×3, first 2 shown]
	ds_write2_b64 v111, v[121:122], v[92:93] offset1:216
	ds_write2_b64 v140, v[70:71], v[72:73] offset0:16 offset1:232
	ds_write2_b64 v59, v[123:124], v[94:95] offset1:216
	ds_write2_b64 v143, v[82:83], v[80:81] offset0:16 offset1:232
	ds_write2_b64 v144, v[74:75], v[102:103] offset0:32 offset1:248
	;; [unrolled: 1-line block ×3, first 2 shown]
	s_waitcnt lgkmcnt(0)
	s_barrier
	buffer_gl0_inv
	s_and_saveexec_b32 s0, vcc_lo
	s_cbranch_execz .LBB0_13
; %bb.12:
	v_mul_u32_u24_e32 v44, 3, v119
	v_mad_u32_u24 v111, v119, 3, 0xfffffe50
	v_lshlrev_b32_e32 v46, 4, v44
	v_lshlrev_b64 v[44:45], 4, v[111:112]
	v_mad_u32_u24 v111, v119, 3, 0xfffffca0
	v_add_co_u32 v54, s0, s8, v46
	v_add_co_ci_u32_e64 v55, null, s9, 0, s0
	v_add_co_u32 v56, vcc_lo, s8, v44
	v_add_co_ci_u32_e32 v57, vcc_lo, s9, v45, vcc_lo
	v_add_co_u32 v62, vcc_lo, 0x35a0, v54
	v_add_co_ci_u32_e32 v63, vcc_lo, 0, v55, vcc_lo
	;; [unrolled: 2-line block ×3, first 2 shown]
	global_load_dwordx4 v[44:47], v[62:63], off offset:16
	v_lshlrev_b64 v[52:53], 4, v[111:112]
	v_mad_u32_u24 v111, v119, 3, 0xfffffaf0
	global_load_dwordx4 v[48:51], v[117:118], off offset:16
	v_add_co_u32 v54, vcc_lo, 0x3000, v54
	v_add_co_ci_u32_e32 v55, vcc_lo, 0, v55, vcc_lo
	v_lshlrev_b64 v[64:65], 4, v[111:112]
	v_add_co_u32 v66, vcc_lo, 0x3000, v56
	v_add_co_ci_u32_e32 v67, vcc_lo, 0, v57, vcc_lo
	v_add_co_u32 v68, vcc_lo, s8, v52
	v_add_co_ci_u32_e32 v69, vcc_lo, s9, v53, vcc_lo
	v_add_co_u32 v70, vcc_lo, s8, v64
	s_clause 0x1
	global_load_dwordx4 v[56:59], v[54:55], off offset:1440
	global_load_dwordx4 v[52:55], v[66:67], off offset:1440
	v_add_co_ci_u32_e32 v71, vcc_lo, s9, v65, vcc_lo
	v_add_co_u32 v64, vcc_lo, 0x35a0, v68
	v_add_co_ci_u32_e32 v65, vcc_lo, 0, v69, vcc_lo
	v_add_co_u32 v66, vcc_lo, 0x35a0, v70
	;; [unrolled: 2-line block ×3, first 2 shown]
	v_add_co_ci_u32_e32 v69, vcc_lo, 0, v69, vcc_lo
	s_clause 0x2
	global_load_dwordx4 v[104:107], v[64:65], off offset:16
	global_load_dwordx4 v[100:103], v[66:67], off offset:16
	;; [unrolled: 1-line block ×3, first 2 shown]
	v_add_co_u32 v68, vcc_lo, 0x3000, v70
	v_add_co_ci_u32_e32 v69, vcc_lo, 0, v71, vcc_lo
	s_clause 0x2
	global_load_dwordx4 v[92:95], v[68:69], off offset:1440
	global_load_dwordx4 v[88:91], v[64:65], off offset:32
	;; [unrolled: 1-line block ×3, first 2 shown]
	v_add_co_u32 v64, vcc_lo, 0x3000, v60
	v_add_co_ci_u32_e32 v65, vcc_lo, 0, v61, vcc_lo
	v_mad_u32_u24 v111, v119, 3, 0xfffff940
	global_load_dwordx4 v[80:83], v[64:65], off offset:1440
	v_lshlrev_b64 v[64:65], 4, v[111:112]
	v_mov_b32_e32 v111, v112
	v_add_co_u32 v66, vcc_lo, s8, v64
	v_add_co_ci_u32_e32 v67, vcc_lo, s9, v65, vcc_lo
	v_add_co_u32 v64, vcc_lo, 0x3000, v66
	v_add_co_ci_u32_e32 v65, vcc_lo, 0, v67, vcc_lo
	;; [unrolled: 2-line block ×3, first 2 shown]
	global_load_dwordx4 v[76:79], v[64:65], off offset:1440
	v_add_co_u32 v121, vcc_lo, 0x35a0, v66
	global_load_dwordx4 v[72:75], v[60:61], off offset:16
	v_add_co_ci_u32_e32 v122, vcc_lo, 0, v67, vcc_lo
	s_clause 0x4
	global_load_dwordx4 v[68:71], v[121:122], off offset:16
	global_load_dwordx4 v[64:67], v[60:61], off offset:32
	;; [unrolled: 1-line block ×5, first 2 shown]
	ds_read2_b64 v[144:147], v137 offset1:144
	ds_read2_b64 v[150:153], v135 offset0:96 offset1:240
	s_waitcnt vmcnt(17) lgkmcnt(1)
	v_mul_f64 v[117:118], v[44:45], v[146:147]
	v_mul_f64 v[154:155], v[46:47], v[146:147]
	ds_read2_b64 v[146:149], v136 offset0:32 offset1:176
	s_waitcnt vmcnt(16)
	v_mul_f64 v[136:137], v[48:49], v[144:145]
	v_mul_f64 v[144:145], v[50:51], v[144:145]
	v_fma_f64 v[117:118], v[42:43], v[46:47], v[117:118]
	v_fma_f64 v[154:155], v[42:43], v[44:45], -v[154:155]
	ds_read2_b64 v[42:45], v134 offset1:144
	s_waitcnt vmcnt(15) lgkmcnt(1)
	v_mul_f64 v[46:47], v[58:59], v[148:149]
	v_fma_f64 v[134:135], v[40:41], v[50:51], v[136:137]
	v_fma_f64 v[136:137], v[40:41], v[48:49], -v[144:145]
	v_mul_f64 v[40:41], v[56:57], v[148:149]
	s_waitcnt vmcnt(14)
	v_mul_f64 v[48:49], v[54:55], v[146:147]
	v_mul_f64 v[50:51], v[52:53], v[146:147]
	s_waitcnt vmcnt(13)
	v_mul_f64 v[144:145], v[104:105], v[152:153]
	;; [unrolled: 3-line block ×3, first 2 shown]
	v_mul_f64 v[150:151], v[102:103], v[150:151]
	s_waitcnt vmcnt(10) lgkmcnt(0)
	v_mul_f64 v[160:161], v[94:95], v[42:43]
	v_mul_f64 v[162:163], v[92:93], v[42:43]
	;; [unrolled: 1-line block ×3, first 2 shown]
	v_fma_f64 v[156:157], v[38:39], v[56:57], -v[46:47]
	v_mul_f64 v[56:57], v[96:97], v[44:45]
	v_fma_f64 v[158:159], v[38:39], v[58:59], v[40:41]
	v_fma_f64 v[164:165], v[36:37], v[52:53], -v[48:49]
	v_fma_f64 v[166:167], v[36:37], v[54:55], v[50:51]
	ds_read2_b64 v[36:39], v133 offset0:96 offset1:240
	ds_read2_b64 v[40:43], v132 offset0:64 offset1:208
	ds_read_b64 v[125:126], v125 offset:5760
	ds_read_b64 v[132:133], v127 offset:4608
	ds_read2_b64 v[44:47], v130 offset0:32 offset1:176
	v_fma_f64 v[106:107], v[34:35], v[106:107], v[144:145]
	v_fma_f64 v[104:105], v[34:35], v[104:105], -v[146:147]
	v_fma_f64 v[102:103], v[32:33], v[102:103], v[148:149]
	v_fma_f64 v[100:101], v[32:33], v[100:101], -v[150:151]
	ds_read2_b64 v[32:35], v131 offset0:96 offset1:240
	ds_read2_b64 v[48:51], v127 offset1:144
	ds_read2_b64 v[52:55], v128 offset0:64 offset1:208
	v_add_co_u32 v131, vcc_lo, s2, v108
	v_lshrrev_b32_e32 v127, 5, v138
	v_lshrrev_b32_e32 v128, 5, v139
	;; [unrolled: 1-line block ×3, first 2 shown]
	v_fma_f64 v[92:93], v[28:29], v[92:93], -v[160:161]
	v_fma_f64 v[28:29], v[28:29], v[94:95], v[162:163]
	v_fma_f64 v[96:97], v[30:31], v[96:97], -v[152:153]
	v_add_co_ci_u32_e32 v163, vcc_lo, s3, v109, vcc_lo
	s_waitcnt vmcnt(9) lgkmcnt(6)
	v_mul_f64 v[94:95], v[88:89], v[42:43]
	v_mul_f64 v[42:43], v[90:91], v[42:43]
	v_fma_f64 v[30:31], v[30:31], v[98:99], v[56:57]
	v_lshlrev_b64 v[98:99], 4, v[110:111]
	s_waitcnt vmcnt(8)
	v_mul_f64 v[110:111], v[84:85], v[40:41]
	v_mul_f64 v[40:41], v[86:87], v[40:41]
	v_mul_hi_u32 v146, 0x97b425f, v127
	ds_read2_b64 v[56:59], v129 offset0:32 offset1:176
	v_lshrrev_b32_e32 v129, 5, v120
	v_add_co_u32 v98, vcc_lo, v131, v98
	v_add_co_ci_u32_e32 v99, vcc_lo, v163, v99, vcc_lo
	v_mul_hi_u32 v148, 0x97b425f, v128
	v_add_co_u32 v108, vcc_lo, 0x3000, v98
	v_add_co_ci_u32_e32 v109, vcc_lo, 0, v99, vcc_lo
	v_add_co_u32 v127, vcc_lo, 0x6800, v98
	v_add_co_ci_u32_e32 v128, vcc_lo, 0, v99, vcc_lo
	v_fma_f64 v[90:91], v[26:27], v[90:91], v[94:95]
	v_fma_f64 v[26:27], v[26:27], v[88:89], -v[42:43]
	s_waitcnt vmcnt(7) lgkmcnt(3)
	v_mul_f64 v[42:43], v[82:83], v[32:33]
	v_mul_f64 v[32:33], v[80:81], v[32:33]
	v_mul_hi_u32 v150, 0x97b425f, v129
	v_add_co_u32 v129, vcc_lo, 0xa000, v98
	v_mul_hi_u32 v152, 0x97b425f, v130
	v_fma_f64 v[86:87], v[24:25], v[86:87], v[110:111]
	v_fma_f64 v[24:25], v[24:25], v[84:85], -v[40:41]
	v_add_co_ci_u32_e32 v130, vcc_lo, 0, v99, vcc_lo
	v_mad_u32_u24 v111, 0xa20, v146, v138
	s_waitcnt vmcnt(6)
	v_mul_f64 v[84:85], v[78:79], v[34:35]
	v_mul_f64 v[34:35], v[76:77], v[34:35]
	v_add_co_u32 v144, vcc_lo, 0x800, v98
	v_add_co_ci_u32_e32 v145, vcc_lo, 0, v99, vcc_lo
	v_add_co_u32 v146, vcc_lo, 0x3800, v98
	v_lshlrev_b64 v[40:41], 4, v[111:112]
	v_mad_u32_u24 v111, 0xa20, v148, v139
	v_add_co_ci_u32_e32 v147, vcc_lo, 0, v99, vcc_lo
	v_add_co_u32 v138, vcc_lo, 0x7000, v98
	v_add_co_ci_u32_e32 v139, vcc_lo, 0, v99, vcc_lo
	v_fma_f64 v[42:43], v[20:21], v[80:81], -v[42:43]
	v_fma_f64 v[20:21], v[20:21], v[82:83], v[32:33]
	v_add_co_u32 v148, vcc_lo, 0xa800, v98
	v_lshlrev_b64 v[32:33], 4, v[111:112]
	v_mad_u32_u24 v111, 0xa20, v150, v120
	v_add_co_ci_u32_e32 v149, vcc_lo, 0, v99, vcc_lo
	v_add_co_u32 v150, vcc_lo, v131, v40
	v_add_co_ci_u32_e32 v151, vcc_lo, v163, v41, vcc_lo
	v_lshlrev_b64 v[40:41], 4, v[111:112]
	v_mad_u32_u24 v111, 0xa20, v152, v119
	v_add_co_u32 v119, vcc_lo, v131, v32
	v_add_co_ci_u32_e32 v120, vcc_lo, v163, v33, vcc_lo
	v_add_co_u32 v152, vcc_lo, 0x3000, v150
	v_add_co_ci_u32_e32 v153, vcc_lo, 0, v151, vcc_lo
	s_waitcnt vmcnt(5) lgkmcnt(1)
	v_mul_f64 v[32:33], v[72:73], v[52:53]
	v_fma_f64 v[76:77], v[22:23], v[76:77], -v[84:85]
	v_fma_f64 v[22:23], v[22:23], v[78:79], v[34:35]
	v_mul_f64 v[34:35], v[74:75], v[52:53]
	v_add_co_u32 v160, vcc_lo, 0x6800, v150
	v_lshlrev_b64 v[52:53], 4, v[111:112]
	v_add_co_ci_u32_e32 v161, vcc_lo, 0, v151, vcc_lo
	v_add_co_u32 v110, vcc_lo, v131, v40
	v_add_co_ci_u32_e32 v111, vcc_lo, v163, v41, vcc_lo
	v_add_co_u32 v162, vcc_lo, v131, v52
	s_waitcnt vmcnt(4)
	v_mul_f64 v[78:79], v[68:69], v[54:55]
	v_mul_f64 v[54:55], v[70:71], v[54:55]
	v_add_co_ci_u32_e32 v163, vcc_lo, v163, v53, vcc_lo
	s_waitcnt vmcnt(3) lgkmcnt(0)
	v_mul_f64 v[40:41], v[66:67], v[56:57]
	v_mul_f64 v[52:53], v[64:65], v[56:57]
	s_waitcnt vmcnt(1)
	v_mul_f64 v[56:57], v[123:124], v[58:59]
	v_fma_f64 v[32:33], v[16:17], v[74:75], v[32:33]
	v_add_f64 v[24:25], v[92:93], -v[24:25]
	v_add_f64 v[84:85], v[6:7], -v[104:105]
	v_fma_f64 v[16:17], v[16:17], v[72:73], -v[34:35]
	v_add_f64 v[82:83], v[132:133], -v[134:135]
	v_add_f64 v[94:95], v[125:126], -v[117:118]
	v_add_f64 v[117:118], v[115:116], -v[154:155]
	v_add_co_u32 v168, vcc_lo, 0xa000, v150
	v_add_co_ci_u32_e32 v169, vcc_lo, 0, v151, vcc_lo
	v_add_co_u32 v170, vcc_lo, 0x3000, v119
	v_add_co_ci_u32_e32 v171, vcc_lo, 0, v120, vcc_lo
	v_fma_f64 v[34:35], v[18:19], v[70:71], v[78:79]
	v_fma_f64 v[18:19], v[18:19], v[68:69], -v[54:55]
	v_mul_f64 v[54:55], v[62:63], v[38:39]
	v_mul_f64 v[38:39], v[60:61], v[38:39]
	v_fma_f64 v[40:41], v[12:13], v[64:65], -v[40:41]
	v_fma_f64 v[12:13], v[12:13], v[66:67], v[52:53]
	v_mul_f64 v[52:53], v[121:122], v[58:59]
	s_waitcnt vmcnt(0)
	v_mul_f64 v[58:59], v[142:143], v[36:37]
	v_mul_f64 v[36:37], v[140:141], v[36:37]
	v_add_co_u32 v172, vcc_lo, 0x6800, v119
	v_add_f64 v[64:65], v[0:1], -v[16:17]
	v_add_co_ci_u32_e32 v173, vcc_lo, 0, v120, vcc_lo
	v_add_co_u32 v174, vcc_lo, 0xa000, v119
	v_add_co_ci_u32_e32 v175, vcc_lo, 0, v120, vcc_lo
	v_add_co_u32 v176, vcc_lo, 0x3000, v110
	v_add_co_ci_u32_e32 v177, vcc_lo, 0, v111, vcc_lo
	v_add_f64 v[66:67], v[50:51], -v[34:35]
	v_add_f64 v[68:69], v[2:3], -v[18:19]
	v_fma_f64 v[54:55], v[10:11], v[60:61], -v[54:55]
	v_fma_f64 v[10:11], v[10:11], v[62:63], v[38:39]
	v_add_f64 v[60:61], v[28:29], -v[86:87]
	v_add_f64 v[62:63], v[48:49], -v[32:33]
	v_fma_f64 v[38:39], v[14:15], v[123:124], v[52:53]
	v_fma_f64 v[14:15], v[14:15], v[121:122], -v[56:57]
	v_fma_f64 v[52:53], v[8:9], v[140:141], -v[58:59]
	v_fma_f64 v[8:9], v[8:9], v[142:143], v[36:37]
	v_add_f64 v[36:37], v[42:43], -v[40:41]
	v_add_f64 v[40:41], v[20:21], -v[12:13]
	v_add_f64 v[56:57], v[44:45], -v[102:103]
	v_add_f64 v[58:59], v[4:5], -v[100:101]
	v_fma_f64 v[80:81], v[0:1], 2.0, -v[64:65]
	v_fma_f64 v[86:87], v[6:7], 2.0, -v[84:85]
	;; [unrolled: 1-line block ×4, first 2 shown]
	v_add_co_u32 v178, vcc_lo, 0x6800, v110
	v_add_co_ci_u32_e32 v179, vcc_lo, 0, v111, vcc_lo
	v_fma_f64 v[50:51], v[50:51], 2.0, -v[66:67]
	v_fma_f64 v[88:89], v[2:3], 2.0, -v[68:69]
	v_add_f64 v[12:13], v[156:157], -v[54:55]
	v_add_f64 v[54:55], v[46:47], -v[106:107]
	v_add_f64 v[10:11], v[158:159], -v[10:11]
	v_fma_f64 v[28:29], v[28:29], 2.0, -v[60:61]
	v_add_f64 v[18:19], v[22:23], -v[38:39]
	v_add_f64 v[32:33], v[76:77], -v[14:15]
	;; [unrolled: 1-line block ×7, first 2 shown]
	v_fma_f64 v[26:27], v[20:21], 2.0, -v[40:41]
	v_fma_f64 v[34:35], v[42:43], 2.0, -v[36:37]
	;; [unrolled: 1-line block ×7, first 2 shown]
	v_add_f64 v[16:17], v[62:63], v[36:37]
	v_add_co_u32 v180, vcc_lo, 0xa000, v110
	v_add_co_ci_u32_e32 v181, vcc_lo, 0, v111, vcc_lo
	v_fma_f64 v[78:79], v[46:47], 2.0, -v[54:55]
	v_fma_f64 v[106:107], v[158:159], 2.0, -v[10:11]
	v_add_f64 v[6:7], v[117:118], -v[10:11]
	v_fma_f64 v[0:1], v[22:23], 2.0, -v[18:19]
	v_fma_f64 v[44:45], v[76:77], 2.0, -v[32:33]
	;; [unrolled: 1-line block ×8, first 2 shown]
	v_add_f64 v[2:3], v[54:55], v[14:15]
	v_add_f64 v[10:11], v[58:59], -v[60:61]
	v_add_f64 v[14:15], v[64:65], -v[40:41]
	v_add_f64 v[20:21], v[66:67], v[32:33]
	v_add_f64 v[18:19], v[68:69], -v[18:19]
	v_add_f64 v[8:9], v[94:95], v[12:13]
	v_add_f64 v[12:13], v[56:57], v[24:25]
	v_add_f64 v[24:25], v[72:73], -v[28:29]
	v_add_f64 v[28:29], v[74:75], -v[26:27]
	;; [unrolled: 1-line block ×4, first 2 shown]
	v_add_f64 v[40:41], v[82:83], v[52:53]
	v_fma_f64 v[60:61], v[62:63], 2.0, -v[16:17]
	v_add_co_u32 v182, vcc_lo, 0x3000, v162
	v_add_f64 v[32:33], v[50:51], -v[0:1]
	v_add_f64 v[30:31], v[88:89], -v[44:45]
	;; [unrolled: 1-line block ×10, first 2 shown]
	v_fma_f64 v[52:53], v[54:55], 2.0, -v[2:3]
	v_fma_f64 v[54:55], v[58:59], 2.0, -v[10:11]
	;; [unrolled: 1-line block ×10, first 2 shown]
	v_add_co_ci_u32_e32 v183, vcc_lo, 0, v163, vcc_lo
	v_fma_f64 v[76:77], v[50:51], 2.0, -v[32:33]
	v_fma_f64 v[74:75], v[88:89], 2.0, -v[30:31]
	;; [unrolled: 1-line block ×7, first 2 shown]
	v_add_co_u32 v121, vcc_lo, 0x6800, v162
	v_fma_f64 v[84:85], v[82:83], 2.0, -v[40:41]
	v_fma_f64 v[82:83], v[90:91], 2.0, -v[38:39]
	v_add_co_ci_u32_e32 v122, vcc_lo, 0, v163, vcc_lo
	v_add_co_u32 v123, vcc_lo, 0xa000, v162
	v_fma_f64 v[92:93], v[94:95], 2.0, -v[8:9]
	v_fma_f64 v[96:97], v[100:101], 2.0, -v[48:49]
	;; [unrolled: 1-line block ×4, first 2 shown]
	v_add_co_ci_u32_e32 v124, vcc_lo, 0, v163, vcc_lo
	global_store_dwordx4 v[129:130], v[14:17], off offset:512
	global_store_dwordx4 v[148:149], v[18:21], off offset:768
	global_store_dwordx4 v[168:169], v[10:13], off offset:512
	global_store_dwordx4 v[108:109], v[58:61], off offset:1536
	global_store_dwordx4 v[127:128], v[26:29], off offset:1024
	global_store_dwordx4 v[146:147], v[62:65], off offset:1792
	global_store_dwordx4 v[138:139], v[30:33], off offset:1280
	global_store_dwordx4 v[152:153], v[54:57], off offset:1536
	global_store_dwordx4 v[160:161], v[22:25], off offset:1024
	global_store_dwordx4 v[98:99], v[70:73], off
	global_store_dwordx4 v[144:145], v[74:77], off offset:256
	global_store_dwordx4 v[150:151], v[66:69], off
	global_store_dwordx4 v[119:120], v[78:81], off
	global_store_dwordx4 v[170:171], v[50:53], off offset:1536
	global_store_dwordx4 v[172:173], v[34:37], off offset:1024
	global_store_dwordx4 v[174:175], v[0:3], off offset:512
	global_store_dwordx4 v[110:111], v[86:89], off
	global_store_dwordx4 v[176:177], v[82:85], off offset:1536
	global_store_dwordx4 v[178:179], v[42:45], off offset:1024
	global_store_dwordx4 v[180:181], v[38:41], off offset:512
	;; [unrolled: 4-line block ×3, first 2 shown]
.LBB0_13:
	s_endpgm
	.section	.rodata,"a",@progbits
	.p2align	6, 0x0
	.amdhsa_kernel fft_rtc_fwd_len3456_factors_6_6_6_4_4_wgs_144_tpt_144_halfLds_dp_ip_CI_unitstride_sbrr_dirReg
		.amdhsa_group_segment_fixed_size 0
		.amdhsa_private_segment_fixed_size 0
		.amdhsa_kernarg_size 88
		.amdhsa_user_sgpr_count 6
		.amdhsa_user_sgpr_private_segment_buffer 1
		.amdhsa_user_sgpr_dispatch_ptr 0
		.amdhsa_user_sgpr_queue_ptr 0
		.amdhsa_user_sgpr_kernarg_segment_ptr 1
		.amdhsa_user_sgpr_dispatch_id 0
		.amdhsa_user_sgpr_flat_scratch_init 0
		.amdhsa_user_sgpr_private_segment_size 0
		.amdhsa_wavefront_size32 1
		.amdhsa_uses_dynamic_stack 0
		.amdhsa_system_sgpr_private_segment_wavefront_offset 0
		.amdhsa_system_sgpr_workgroup_id_x 1
		.amdhsa_system_sgpr_workgroup_id_y 0
		.amdhsa_system_sgpr_workgroup_id_z 0
		.amdhsa_system_sgpr_workgroup_info 0
		.amdhsa_system_vgpr_workitem_id 0
		.amdhsa_next_free_vgpr 184
		.amdhsa_next_free_sgpr 21
		.amdhsa_reserve_vcc 1
		.amdhsa_reserve_flat_scratch 0
		.amdhsa_float_round_mode_32 0
		.amdhsa_float_round_mode_16_64 0
		.amdhsa_float_denorm_mode_32 3
		.amdhsa_float_denorm_mode_16_64 3
		.amdhsa_dx10_clamp 1
		.amdhsa_ieee_mode 1
		.amdhsa_fp16_overflow 0
		.amdhsa_workgroup_processor_mode 1
		.amdhsa_memory_ordered 1
		.amdhsa_forward_progress 0
		.amdhsa_shared_vgpr_count 0
		.amdhsa_exception_fp_ieee_invalid_op 0
		.amdhsa_exception_fp_denorm_src 0
		.amdhsa_exception_fp_ieee_div_zero 0
		.amdhsa_exception_fp_ieee_overflow 0
		.amdhsa_exception_fp_ieee_underflow 0
		.amdhsa_exception_fp_ieee_inexact 0
		.amdhsa_exception_int_div_zero 0
	.end_amdhsa_kernel
	.text
.Lfunc_end0:
	.size	fft_rtc_fwd_len3456_factors_6_6_6_4_4_wgs_144_tpt_144_halfLds_dp_ip_CI_unitstride_sbrr_dirReg, .Lfunc_end0-fft_rtc_fwd_len3456_factors_6_6_6_4_4_wgs_144_tpt_144_halfLds_dp_ip_CI_unitstride_sbrr_dirReg
                                        ; -- End function
	.section	.AMDGPU.csdata,"",@progbits
; Kernel info:
; codeLenInByte = 15804
; NumSgprs: 23
; NumVgprs: 184
; ScratchSize: 0
; MemoryBound: 1
; FloatMode: 240
; IeeeMode: 1
; LDSByteSize: 0 bytes/workgroup (compile time only)
; SGPRBlocks: 2
; VGPRBlocks: 22
; NumSGPRsForWavesPerEU: 23
; NumVGPRsForWavesPerEU: 184
; Occupancy: 5
; WaveLimiterHint : 1
; COMPUTE_PGM_RSRC2:SCRATCH_EN: 0
; COMPUTE_PGM_RSRC2:USER_SGPR: 6
; COMPUTE_PGM_RSRC2:TRAP_HANDLER: 0
; COMPUTE_PGM_RSRC2:TGID_X_EN: 1
; COMPUTE_PGM_RSRC2:TGID_Y_EN: 0
; COMPUTE_PGM_RSRC2:TGID_Z_EN: 0
; COMPUTE_PGM_RSRC2:TIDIG_COMP_CNT: 0
	.text
	.p2alignl 6, 3214868480
	.fill 48, 4, 3214868480
	.type	__hip_cuid_6a2d40714b52df36,@object ; @__hip_cuid_6a2d40714b52df36
	.section	.bss,"aw",@nobits
	.globl	__hip_cuid_6a2d40714b52df36
__hip_cuid_6a2d40714b52df36:
	.byte	0                               ; 0x0
	.size	__hip_cuid_6a2d40714b52df36, 1

	.ident	"AMD clang version 19.0.0git (https://github.com/RadeonOpenCompute/llvm-project roc-6.4.0 25133 c7fe45cf4b819c5991fe208aaa96edf142730f1d)"
	.section	".note.GNU-stack","",@progbits
	.addrsig
	.addrsig_sym __hip_cuid_6a2d40714b52df36
	.amdgpu_metadata
---
amdhsa.kernels:
  - .args:
      - .actual_access:  read_only
        .address_space:  global
        .offset:         0
        .size:           8
        .value_kind:     global_buffer
      - .offset:         8
        .size:           8
        .value_kind:     by_value
      - .actual_access:  read_only
        .address_space:  global
        .offset:         16
        .size:           8
        .value_kind:     global_buffer
      - .actual_access:  read_only
        .address_space:  global
        .offset:         24
        .size:           8
        .value_kind:     global_buffer
      - .offset:         32
        .size:           8
        .value_kind:     by_value
      - .actual_access:  read_only
        .address_space:  global
        .offset:         40
        .size:           8
        .value_kind:     global_buffer
      - .actual_access:  read_only
        .address_space:  global
        .offset:         48
        .size:           8
        .value_kind:     global_buffer
      - .offset:         56
        .size:           4
        .value_kind:     by_value
      - .actual_access:  read_only
        .address_space:  global
        .offset:         64
        .size:           8
        .value_kind:     global_buffer
      - .actual_access:  read_only
        .address_space:  global
        .offset:         72
        .size:           8
        .value_kind:     global_buffer
      - .address_space:  global
        .offset:         80
        .size:           8
        .value_kind:     global_buffer
    .group_segment_fixed_size: 0
    .kernarg_segment_align: 8
    .kernarg_segment_size: 88
    .language:       OpenCL C
    .language_version:
      - 2
      - 0
    .max_flat_workgroup_size: 144
    .name:           fft_rtc_fwd_len3456_factors_6_6_6_4_4_wgs_144_tpt_144_halfLds_dp_ip_CI_unitstride_sbrr_dirReg
    .private_segment_fixed_size: 0
    .sgpr_count:     23
    .sgpr_spill_count: 0
    .symbol:         fft_rtc_fwd_len3456_factors_6_6_6_4_4_wgs_144_tpt_144_halfLds_dp_ip_CI_unitstride_sbrr_dirReg.kd
    .uniform_work_group_size: 1
    .uses_dynamic_stack: false
    .vgpr_count:     184
    .vgpr_spill_count: 0
    .wavefront_size: 32
    .workgroup_processor_mode: 1
amdhsa.target:   amdgcn-amd-amdhsa--gfx1030
amdhsa.version:
  - 1
  - 2
...

	.end_amdgpu_metadata
